;; amdgpu-corpus repo=ROCm/rocFFT kind=compiled arch=gfx1030 opt=O3
	.text
	.amdgcn_target "amdgcn-amd-amdhsa--gfx1030"
	.amdhsa_code_object_version 6
	.protected	fft_rtc_back_len1785_factors_17_3_5_7_wgs_119_tpt_119_halfLds_sp_ip_CI_sbrr_dirReg ; -- Begin function fft_rtc_back_len1785_factors_17_3_5_7_wgs_119_tpt_119_halfLds_sp_ip_CI_sbrr_dirReg
	.globl	fft_rtc_back_len1785_factors_17_3_5_7_wgs_119_tpt_119_halfLds_sp_ip_CI_sbrr_dirReg
	.p2align	8
	.type	fft_rtc_back_len1785_factors_17_3_5_7_wgs_119_tpt_119_halfLds_sp_ip_CI_sbrr_dirReg,@function
fft_rtc_back_len1785_factors_17_3_5_7_wgs_119_tpt_119_halfLds_sp_ip_CI_sbrr_dirReg: ; @fft_rtc_back_len1785_factors_17_3_5_7_wgs_119_tpt_119_halfLds_sp_ip_CI_sbrr_dirReg
; %bb.0:
	s_clause 0x2
	s_load_dwordx2 s[14:15], s[4:5], 0x18
	s_load_dwordx4 s[8:11], s[4:5], 0x0
	s_load_dwordx2 s[12:13], s[4:5], 0x50
	v_mul_u32_u24_e32 v1, 0x227, v0
	v_mov_b32_e32 v3, 0
	v_add_nc_u32_sdwa v5, s6, v1 dst_sel:DWORD dst_unused:UNUSED_PAD src0_sel:DWORD src1_sel:WORD_1
	v_mov_b32_e32 v1, 0
	v_mov_b32_e32 v6, v3
	v_mov_b32_e32 v2, 0
	s_waitcnt lgkmcnt(0)
	s_load_dwordx2 s[2:3], s[14:15], 0x0
	v_cmp_lt_u64_e64 s0, s[10:11], 2
	s_and_b32 vcc_lo, exec_lo, s0
	s_cbranch_vccnz .LBB0_8
; %bb.1:
	s_load_dwordx2 s[0:1], s[4:5], 0x10
	v_mov_b32_e32 v1, 0
	s_add_u32 s6, s14, 8
	v_mov_b32_e32 v2, 0
	s_addc_u32 s7, s15, 0
	s_mov_b64 s[18:19], 1
	s_waitcnt lgkmcnt(0)
	s_add_u32 s16, s0, 8
	s_addc_u32 s17, s1, 0
.LBB0_2:                                ; =>This Inner Loop Header: Depth=1
	s_load_dwordx2 s[20:21], s[16:17], 0x0
                                        ; implicit-def: $vgpr7_vgpr8
	s_mov_b32 s0, exec_lo
	s_waitcnt lgkmcnt(0)
	v_or_b32_e32 v4, s21, v6
	v_cmpx_ne_u64_e32 0, v[3:4]
	s_xor_b32 s1, exec_lo, s0
	s_cbranch_execz .LBB0_4
; %bb.3:                                ;   in Loop: Header=BB0_2 Depth=1
	v_cvt_f32_u32_e32 v4, s20
	v_cvt_f32_u32_e32 v7, s21
	s_sub_u32 s0, 0, s20
	s_subb_u32 s22, 0, s21
	v_fmac_f32_e32 v4, 0x4f800000, v7
	v_rcp_f32_e32 v4, v4
	v_mul_f32_e32 v4, 0x5f7ffffc, v4
	v_mul_f32_e32 v7, 0x2f800000, v4
	v_trunc_f32_e32 v7, v7
	v_fmac_f32_e32 v4, 0xcf800000, v7
	v_cvt_u32_f32_e32 v7, v7
	v_cvt_u32_f32_e32 v4, v4
	v_mul_lo_u32 v8, s0, v7
	v_mul_hi_u32 v9, s0, v4
	v_mul_lo_u32 v10, s22, v4
	v_add_nc_u32_e32 v8, v9, v8
	v_mul_lo_u32 v9, s0, v4
	v_add_nc_u32_e32 v8, v8, v10
	v_mul_hi_u32 v10, v4, v9
	v_mul_lo_u32 v11, v4, v8
	v_mul_hi_u32 v12, v4, v8
	v_mul_hi_u32 v13, v7, v9
	v_mul_lo_u32 v9, v7, v9
	v_mul_hi_u32 v14, v7, v8
	v_mul_lo_u32 v8, v7, v8
	v_add_co_u32 v10, vcc_lo, v10, v11
	v_add_co_ci_u32_e32 v11, vcc_lo, 0, v12, vcc_lo
	v_add_co_u32 v9, vcc_lo, v10, v9
	v_add_co_ci_u32_e32 v9, vcc_lo, v11, v13, vcc_lo
	v_add_co_ci_u32_e32 v10, vcc_lo, 0, v14, vcc_lo
	v_add_co_u32 v8, vcc_lo, v9, v8
	v_add_co_ci_u32_e32 v9, vcc_lo, 0, v10, vcc_lo
	v_add_co_u32 v4, vcc_lo, v4, v8
	v_add_co_ci_u32_e32 v7, vcc_lo, v7, v9, vcc_lo
	v_mul_hi_u32 v8, s0, v4
	v_mul_lo_u32 v10, s22, v4
	v_mul_lo_u32 v9, s0, v7
	v_add_nc_u32_e32 v8, v8, v9
	v_mul_lo_u32 v9, s0, v4
	v_add_nc_u32_e32 v8, v8, v10
	v_mul_hi_u32 v10, v4, v9
	v_mul_lo_u32 v11, v4, v8
	v_mul_hi_u32 v12, v4, v8
	v_mul_hi_u32 v13, v7, v9
	v_mul_lo_u32 v9, v7, v9
	v_mul_hi_u32 v14, v7, v8
	v_mul_lo_u32 v8, v7, v8
	v_add_co_u32 v10, vcc_lo, v10, v11
	v_add_co_ci_u32_e32 v11, vcc_lo, 0, v12, vcc_lo
	v_add_co_u32 v9, vcc_lo, v10, v9
	v_add_co_ci_u32_e32 v9, vcc_lo, v11, v13, vcc_lo
	v_add_co_ci_u32_e32 v10, vcc_lo, 0, v14, vcc_lo
	v_add_co_u32 v8, vcc_lo, v9, v8
	v_add_co_ci_u32_e32 v9, vcc_lo, 0, v10, vcc_lo
	v_add_co_u32 v4, vcc_lo, v4, v8
	v_add_co_ci_u32_e32 v11, vcc_lo, v7, v9, vcc_lo
	v_mul_hi_u32 v13, v5, v4
	v_mad_u64_u32 v[9:10], null, v6, v4, 0
	v_mad_u64_u32 v[7:8], null, v5, v11, 0
	;; [unrolled: 1-line block ×3, first 2 shown]
	v_add_co_u32 v4, vcc_lo, v13, v7
	v_add_co_ci_u32_e32 v7, vcc_lo, 0, v8, vcc_lo
	v_add_co_u32 v4, vcc_lo, v4, v9
	v_add_co_ci_u32_e32 v4, vcc_lo, v7, v10, vcc_lo
	v_add_co_ci_u32_e32 v7, vcc_lo, 0, v12, vcc_lo
	v_add_co_u32 v4, vcc_lo, v4, v11
	v_add_co_ci_u32_e32 v9, vcc_lo, 0, v7, vcc_lo
	v_mul_lo_u32 v10, s21, v4
	v_mad_u64_u32 v[7:8], null, s20, v4, 0
	v_mul_lo_u32 v11, s20, v9
	v_sub_co_u32 v7, vcc_lo, v5, v7
	v_add3_u32 v8, v8, v11, v10
	v_sub_nc_u32_e32 v10, v6, v8
	v_subrev_co_ci_u32_e64 v10, s0, s21, v10, vcc_lo
	v_add_co_u32 v11, s0, v4, 2
	v_add_co_ci_u32_e64 v12, s0, 0, v9, s0
	v_sub_co_u32 v13, s0, v7, s20
	v_sub_co_ci_u32_e32 v8, vcc_lo, v6, v8, vcc_lo
	v_subrev_co_ci_u32_e64 v10, s0, 0, v10, s0
	v_cmp_le_u32_e32 vcc_lo, s20, v13
	v_cmp_eq_u32_e64 s0, s21, v8
	v_cndmask_b32_e64 v13, 0, -1, vcc_lo
	v_cmp_le_u32_e32 vcc_lo, s21, v10
	v_cndmask_b32_e64 v14, 0, -1, vcc_lo
	v_cmp_le_u32_e32 vcc_lo, s20, v7
	;; [unrolled: 2-line block ×3, first 2 shown]
	v_cndmask_b32_e64 v15, 0, -1, vcc_lo
	v_cmp_eq_u32_e32 vcc_lo, s21, v10
	v_cndmask_b32_e64 v7, v15, v7, s0
	v_cndmask_b32_e32 v10, v14, v13, vcc_lo
	v_add_co_u32 v13, vcc_lo, v4, 1
	v_add_co_ci_u32_e32 v14, vcc_lo, 0, v9, vcc_lo
	v_cmp_ne_u32_e32 vcc_lo, 0, v10
	v_cndmask_b32_e32 v8, v14, v12, vcc_lo
	v_cndmask_b32_e32 v10, v13, v11, vcc_lo
	v_cmp_ne_u32_e32 vcc_lo, 0, v7
	v_cndmask_b32_e32 v8, v9, v8, vcc_lo
	v_cndmask_b32_e32 v7, v4, v10, vcc_lo
.LBB0_4:                                ;   in Loop: Header=BB0_2 Depth=1
	s_andn2_saveexec_b32 s0, s1
	s_cbranch_execz .LBB0_6
; %bb.5:                                ;   in Loop: Header=BB0_2 Depth=1
	v_cvt_f32_u32_e32 v4, s20
	s_sub_i32 s1, 0, s20
	v_rcp_iflag_f32_e32 v4, v4
	v_mul_f32_e32 v4, 0x4f7ffffe, v4
	v_cvt_u32_f32_e32 v4, v4
	v_mul_lo_u32 v7, s1, v4
	v_mul_hi_u32 v7, v4, v7
	v_add_nc_u32_e32 v4, v4, v7
	v_mul_hi_u32 v4, v5, v4
	v_mul_lo_u32 v7, v4, s20
	v_add_nc_u32_e32 v8, 1, v4
	v_sub_nc_u32_e32 v7, v5, v7
	v_subrev_nc_u32_e32 v9, s20, v7
	v_cmp_le_u32_e32 vcc_lo, s20, v7
	v_cndmask_b32_e32 v7, v7, v9, vcc_lo
	v_cndmask_b32_e32 v4, v4, v8, vcc_lo
	v_cmp_le_u32_e32 vcc_lo, s20, v7
	v_add_nc_u32_e32 v8, 1, v4
	v_cndmask_b32_e32 v7, v4, v8, vcc_lo
	v_mov_b32_e32 v8, v3
.LBB0_6:                                ;   in Loop: Header=BB0_2 Depth=1
	s_or_b32 exec_lo, exec_lo, s0
	s_load_dwordx2 s[0:1], s[6:7], 0x0
	v_mul_lo_u32 v4, v8, s20
	v_mul_lo_u32 v11, v7, s21
	v_mad_u64_u32 v[9:10], null, v7, s20, 0
	s_add_u32 s18, s18, 1
	s_addc_u32 s19, s19, 0
	s_add_u32 s6, s6, 8
	s_addc_u32 s7, s7, 0
	;; [unrolled: 2-line block ×3, first 2 shown]
	v_add3_u32 v4, v10, v11, v4
	v_sub_co_u32 v5, vcc_lo, v5, v9
	v_sub_co_ci_u32_e32 v4, vcc_lo, v6, v4, vcc_lo
	s_waitcnt lgkmcnt(0)
	v_mul_lo_u32 v6, s1, v5
	v_mul_lo_u32 v4, s0, v4
	v_mad_u64_u32 v[1:2], null, s0, v5, v[1:2]
	v_cmp_ge_u64_e64 s0, s[18:19], s[10:11]
	s_and_b32 vcc_lo, exec_lo, s0
	v_add3_u32 v2, v6, v2, v4
	s_cbranch_vccnz .LBB0_9
; %bb.7:                                ;   in Loop: Header=BB0_2 Depth=1
	v_mov_b32_e32 v5, v7
	v_mov_b32_e32 v6, v8
	s_branch .LBB0_2
.LBB0_8:
	v_mov_b32_e32 v8, v6
	v_mov_b32_e32 v7, v5
.LBB0_9:
	s_lshl_b64 s[0:1], s[10:11], 3
	v_mul_hi_u32 v3, 0x226b903, v0
	s_add_u32 s0, s14, s0
	s_addc_u32 s1, s15, s1
	v_mov_b32_e32 v9, 0
	s_load_dwordx2 s[0:1], s[0:1], 0x0
	s_load_dwordx2 s[4:5], s[4:5], 0x20
                                        ; implicit-def: $vgpr15
                                        ; implicit-def: $vgpr13
                                        ; implicit-def: $vgpr11
                                        ; implicit-def: $vgpr23
                                        ; implicit-def: $vgpr21
                                        ; implicit-def: $vgpr19
                                        ; implicit-def: $vgpr17
                                        ; implicit-def: $vgpr29
                                        ; implicit-def: $vgpr27
                                        ; implicit-def: $vgpr25
                                        ; implicit-def: $vgpr35
                                        ; implicit-def: $vgpr31
                                        ; implicit-def: $vgpr33
                                        ; implicit-def: $vgpr39
                                        ; implicit-def: $vgpr41
                                        ; implicit-def: $vgpr37
	v_mul_u32_u24_e32 v3, 0x77, v3
	v_sub_nc_u32_e32 v56, v0, v3
	s_waitcnt lgkmcnt(0)
	v_mul_lo_u32 v4, s0, v8
	v_mul_lo_u32 v5, s1, v7
	v_mad_u64_u32 v[1:2], null, s0, v7, v[1:2]
	v_cmp_gt_u64_e32 vcc_lo, s[4:5], v[7:8]
	v_cmp_gt_u32_e64 s0, 0x69, v56
	v_mov_b32_e32 v8, 0
	s_and_b32 s1, vcc_lo, s0
	v_add3_u32 v2, v5, v2, v4
	v_lshlrev_b64 v[4:5], 3, v[1:2]
	s_and_saveexec_b32 s4, s1
	s_cbranch_execz .LBB0_11
; %bb.10:
	v_add_nc_u32_e32 v10, 0x69, v56
	v_add_nc_u32_e32 v11, 0xd2, v56
	v_mad_u64_u32 v[0:1], null, s2, v56, 0
	v_add_nc_u32_e32 v12, 0x13b, v56
	v_mad_u64_u32 v[2:3], null, s2, v10, 0
	v_mad_u64_u32 v[6:7], null, s2, v11, 0
	v_add_nc_u32_e32 v13, 0x1a4, v56
	v_add_nc_u32_e32 v14, 0x20d, v56
	v_add_co_u32 v45, s1, s12, v4
	v_mad_u64_u32 v[8:9], null, s3, v56, v[1:2]
	v_mov_b32_e32 v1, v3
	v_mov_b32_e32 v3, v7
	v_mad_u64_u32 v[16:17], null, s2, v13, 0
	v_mad_u64_u32 v[18:19], null, s2, v14, 0
	;; [unrolled: 1-line block ×3, first 2 shown]
	v_mov_b32_e32 v1, v8
	v_mad_u64_u32 v[7:8], null, s3, v11, v[3:4]
	v_mad_u64_u32 v[10:11], null, s2, v12, 0
	v_lshlrev_b64 v[0:1], 3, v[0:1]
	v_mov_b32_e32 v3, v9
	v_add_co_ci_u32_e64 v46, s1, s13, v5, s1
	v_lshlrev_b64 v[6:7], 3, v[6:7]
	v_add_nc_u32_e32 v24, 0x276, v56
	v_mov_b32_e32 v8, v11
	v_lshlrev_b64 v[2:3], 3, v[2:3]
	v_add_co_u32 v0, s1, v45, v0
	v_add_co_ci_u32_e64 v1, s1, v46, v1, s1
	v_mad_u64_u32 v[8:9], null, s3, v12, v[8:9]
	v_mov_b32_e32 v9, v19
	v_add_co_u32 v2, s1, v45, v2
	v_add_co_ci_u32_e64 v3, s1, v46, v3, s1
	v_add_co_u32 v6, s1, v45, v6
	v_mov_b32_e32 v11, v8
	v_mov_b32_e32 v8, v17
	v_add_co_ci_u32_e64 v7, s1, v46, v7, s1
	v_add_nc_u32_e32 v25, 0x2df, v56
	v_lshlrev_b64 v[10:11], 3, v[10:11]
	v_mad_u64_u32 v[12:13], null, s3, v13, v[8:9]
	v_mad_u64_u32 v[20:21], null, s2, v24, 0
	;; [unrolled: 1-line block ×4, first 2 shown]
	v_add_co_u32 v10, s1, v45, v10
	v_add_co_ci_u32_e64 v11, s1, v46, v11, s1
	v_mov_b32_e32 v17, v12
	v_add_nc_u32_e32 v26, 0x348, v56
	v_mov_b32_e32 v19, v8
	s_clause 0x3
	global_load_dwordx2 v[8:9], v[0:1], off
	global_load_dwordx2 v[14:15], v[2:3], off
	;; [unrolled: 1-line block ×4, first 2 shown]
	v_mov_b32_e32 v2, v21
	v_mov_b32_e32 v3, v23
	v_lshlrev_b64 v[0:1], 3, v[16:17]
	v_lshlrev_b64 v[6:7], 3, v[18:19]
	v_add_nc_u32_e32 v32, 0x41a, v56
	v_add_nc_u32_e32 v33, 0x483, v56
	v_mad_u64_u32 v[16:17], null, s3, v24, v[2:3]
	v_mad_u64_u32 v[2:3], null, s3, v25, v[3:4]
	;; [unrolled: 1-line block ×3, first 2 shown]
	v_add_co_u32 v0, s1, v45, v0
	v_mov_b32_e32 v21, v16
	v_add_co_ci_u32_e64 v1, s1, v46, v1, s1
	v_mov_b32_e32 v23, v2
	v_add_co_u32 v2, s1, v45, v6
	v_mov_b32_e32 v6, v25
	v_lshlrev_b64 v[16:17], 3, v[20:21]
	v_add_nc_u32_e32 v20, 0x3b1, v56
	v_add_co_ci_u32_e64 v3, s1, v46, v7, s1
	v_mad_u64_u32 v[6:7], null, s3, v26, v[6:7]
	v_mad_u64_u32 v[26:27], null, s2, v20, 0
	v_lshlrev_b64 v[18:19], 3, v[22:23]
	v_mad_u64_u32 v[30:31], null, s2, v32, 0
	v_add_co_u32 v16, s1, v45, v16
	v_add_co_ci_u32_e64 v17, s1, v46, v17, s1
	v_mov_b32_e32 v7, v27
	v_add_co_u32 v28, s1, v45, v18
	v_mov_b32_e32 v25, v6
	v_add_co_ci_u32_e64 v29, s1, v46, v19, s1
	v_add_nc_u32_e32 v47, 0x627, v56
	v_add_nc_u32_e32 v48, 0x690, v56
	v_mad_u64_u32 v[40:41], null, s2, v47, 0
	s_waitcnt vmcnt(3)
	v_mad_u64_u32 v[6:7], null, s3, v20, v[7:8]
	s_clause 0x3
	global_load_dwordx2 v[22:23], v[0:1], off
	global_load_dwordx2 v[20:21], v[2:3], off
	;; [unrolled: 1-line block ×4, first 2 shown]
	v_mov_b32_e32 v2, v31
	v_lshlrev_b64 v[0:1], 3, v[24:25]
	v_mad_u64_u32 v[24:25], null, s2, v33, 0
	v_add_nc_u32_e32 v28, 0x4ec, v56
	v_mad_u64_u32 v[2:3], null, s3, v32, v[2:3]
	v_mov_b32_e32 v27, v6
	v_add_co_u32 v0, s1, v45, v0
	v_mov_b32_e32 v3, v25
	v_add_nc_u32_e32 v29, 0x555, v56
	v_lshlrev_b64 v[6:7], 3, v[26:27]
	v_mov_b32_e32 v31, v2
	v_add_co_ci_u32_e64 v1, s1, v46, v1, s1
	v_mad_u64_u32 v[2:3], null, s3, v33, v[3:4]
	v_mad_u64_u32 v[32:33], null, s2, v28, 0
	v_lshlrev_b64 v[26:27], 3, v[30:31]
	v_add_co_u32 v6, s1, v45, v6
	v_add_co_ci_u32_e64 v7, s1, v46, v7, s1
	v_mov_b32_e32 v25, v2
	v_mov_b32_e32 v2, v33
	v_mad_u64_u32 v[30:31], null, s2, v29, 0
	v_add_co_u32 v34, s1, v45, v26
	v_add_nc_u32_e32 v26, 0x5be, v56
	v_mad_u64_u32 v[2:3], null, s3, v28, v[2:3]
	v_lshlrev_b64 v[24:25], 3, v[24:25]
	v_mov_b32_e32 v3, v31
	v_mad_u64_u32 v[38:39], null, s2, v26, 0
	v_add_co_ci_u32_e64 v35, s1, v46, v27, s1
	v_mov_b32_e32 v33, v2
	v_mad_u64_u32 v[2:3], null, s3, v29, v[3:4]
	v_add_co_u32 v24, s1, v45, v24
	v_mov_b32_e32 v3, v39
	v_add_co_ci_u32_e64 v25, s1, v46, v25, s1
	v_mov_b32_e32 v31, v2
	v_mad_u64_u32 v[42:43], null, s3, v26, v[3:4]
	v_mad_u64_u32 v[43:44], null, s2, v48, 0
	s_clause 0x3
	global_load_dwordx2 v[28:29], v[0:1], off
	global_load_dwordx2 v[26:27], v[6:7], off
	global_load_dwordx2 v[36:37], v[34:35], off
	global_load_dwordx2 v[24:25], v[24:25], off
	v_mov_b32_e32 v0, v41
	v_lshlrev_b64 v[6:7], 3, v[32:33]
	v_mov_b32_e32 v39, v42
	v_mad_u64_u32 v[0:1], null, s3, v47, v[0:1]
	v_mov_b32_e32 v1, v44
	v_add_co_u32 v2, s1, v45, v6
	v_add_co_ci_u32_e64 v3, s1, v46, v7, s1
	v_lshlrev_b64 v[6:7], 3, v[30:31]
	v_mad_u64_u32 v[30:31], null, s3, v48, v[1:2]
	v_lshlrev_b64 v[31:32], 3, v[38:39]
	v_mov_b32_e32 v41, v0
	v_add_co_u32 v0, s1, v45, v6
	v_add_co_ci_u32_e64 v1, s1, v46, v7, s1
	v_mov_b32_e32 v44, v30
	v_lshlrev_b64 v[6:7], 3, v[40:41]
	v_add_co_u32 v30, s1, v45, v31
	v_add_co_ci_u32_e64 v31, s1, v46, v32, s1
	v_lshlrev_b64 v[32:33], 3, v[43:44]
	v_add_co_u32 v6, s1, v45, v6
	v_add_co_ci_u32_e64 v7, s1, v46, v7, s1
	v_add_co_u32 v32, s1, v45, v32
	v_add_co_ci_u32_e64 v33, s1, v46, v33, s1
	s_clause 0x4
	global_load_dwordx2 v[40:41], v[2:3], off
	global_load_dwordx2 v[38:39], v[0:1], off
	;; [unrolled: 1-line block ×5, first 2 shown]
.LBB0_11:
	s_or_b32 exec_lo, exec_lo, s4
	s_waitcnt vmcnt(0)
	v_sub_f32_e32 v66, v15, v33
	v_add_f32_e32 v0, v14, v32
	v_sub_f32_e32 v68, v13, v31
	v_add_f32_e32 v3, v12, v30
	v_sub_f32_e32 v67, v11, v35
	v_mul_f32_e32 v43, 0xbeb8f4ab, v66
	v_mul_f32_e32 v51, 0xbf2c7751, v66
	;; [unrolled: 1-line block ×3, first 2 shown]
	v_add_f32_e32 v6, v10, v34
	v_mul_f32_e32 v52, 0xbf7ee86f, v68
	v_fma_f32 v1, 0x3f6eb680, v0, -v43
	v_mul_f32_e32 v7, 0xbf65296c, v67
	v_fma_f32 v2, 0x3f3d2fb0, v0, -v51
	v_fma_f32 v44, 0x3f3d2fb0, v3, -v46
	v_sub_f32_e32 v69, v23, v39
	v_add_f32_e32 v1, v8, v1
	v_add_f32_e32 v42, v22, v38
	v_fma_f32 v47, 0x3dbcf732, v3, -v52
	v_fma_f32 v48, 0x3ee437d1, v6, -v7
	v_add_f32_e32 v2, v8, v2
	v_add_f32_e32 v1, v44, v1
	v_mul_f32_e32 v53, 0xbf4c4adb, v67
	v_sub_f32_e32 v70, v21, v41
	v_mul_f32_e32 v45, 0xbf7ee86f, v69
	v_add_f32_e32 v2, v47, v2
	v_add_f32_e32 v1, v48, v1
	v_fma_f32 v47, 0xbf1a4643, v6, -v53
	v_mul_f32_e32 v50, 0xbe3c28d5, v69
	v_fma_f32 v48, 0x3dbcf732, v42, -v45
	v_add_f32_e32 v57, v20, v40
	v_mul_f32_e32 v44, 0xbf763a35, v70
	v_sub_f32_e32 v65, v19, v25
	v_add_f32_e32 v2, v47, v2
	v_fma_f32 v49, 0xbf7ba420, v42, -v50
	v_mul_f32_e32 v47, 0x3f06c442, v70
	v_add_f32_e32 v1, v48, v1
	v_fma_f32 v54, 0xbe8c1d8e, v57, -v44
	v_add_f32_e32 v62, v18, v24
	v_mul_f32_e32 v48, 0xbf4c4adb, v65
	v_add_f32_e32 v2, v49, v2
	v_fma_f32 v55, 0xbf59a7d5, v57, -v47
	v_mul_f32_e32 v49, 0x3f763a35, v65
	v_add_f32_e32 v1, v1, v54
	v_sub_f32_e32 v58, v17, v37
	v_fma_f32 v59, 0xbf1a4643, v62, -v48
	v_add_f32_e32 v2, v2, v55
	v_fma_f32 v60, 0xbe8c1d8e, v62, -v49
	v_add_f32_e32 v63, v16, v36
	v_mul_f32_e32 v54, 0xbf06c442, v58
	v_mul_f32_e32 v55, 0x3f65296c, v58
	v_add_f32_e32 v1, v59, v1
	v_sub_f32_e32 v59, v29, v27
	v_add_f32_e32 v2, v60, v2
	v_fma_f32 v71, 0xbf59a7d5, v63, -v54
	v_fma_f32 v72, 0x3ee437d1, v63, -v55
	v_add_f32_e32 v64, v28, v26
	v_mul_f32_e32 v60, 0xbe3c28d5, v59
	v_mul_f32_e32 v61, 0x3eb8f4ab, v59
	v_add_f32_e32 v1, v1, v71
	v_add_f32_e32 v71, v2, v72
	v_fma_f32 v2, 0xbf7ba420, v64, -v60
	v_fma_f32 v72, 0x3f6eb680, v64, -v61
	v_add_f32_e32 v2, v2, v1
	v_add_f32_e32 v1, v72, v71
	s_and_saveexec_b32 s1, s0
	s_cbranch_execz .LBB0_13
; %bb.12:
	v_mul_f32_e32 v71, 0xbf7ba420, v0
	v_mul_f32_e32 v72, 0x3f6eb680, v3
	;; [unrolled: 1-line block ×5, first 2 shown]
	v_fmamk_f32 v76, v66, 0x3e3c28d5, v71
	v_fmac_f32_e32 v71, 0xbe3c28d5, v66
	v_fmamk_f32 v79, v68, 0xbeb8f4ab, v72
	v_fmac_f32_e32 v72, 0x3eb8f4ab, v68
	v_fmamk_f32 v81, v67, 0x3f06c442, v75
	v_add_f32_e32 v76, v8, v76
	v_add_f32_e32 v71, v8, v71
	v_mul_f32_e32 v74, 0x3ee437d1, v3
	v_mul_f32_e32 v78, 0xbf1a4643, v57
	v_fmamk_f32 v80, v66, 0x3f06c442, v73
	v_add_f32_e32 v76, v79, v76
	v_fmac_f32_e32 v75, 0xbf06c442, v67
	v_add_f32_e32 v71, v72, v71
	v_fmamk_f32 v72, v69, 0xbf2c7751, v77
	v_fmamk_f32 v79, v68, 0xbf65296c, v74
	v_add_f32_e32 v76, v81, v76
	v_fmac_f32_e32 v77, 0x3f2c7751, v69
	v_fmamk_f32 v81, v70, 0x3f4c4adb, v78
	v_add_f32_e32 v71, v75, v71
	v_add_f32_e32 v75, v8, v80
	;; [unrolled: 1-line block ×3, first 2 shown]
	v_mul_f32_e32 v76, 0x3ee437d1, v62
	v_fmac_f32_e32 v78, 0xbf4c4adb, v70
	v_add_f32_e32 v71, v77, v71
	v_add_f32_e32 v75, v79, v75
	;; [unrolled: 1-line block ×3, first 2 shown]
	v_fmamk_f32 v77, v65, 0xbf65296c, v76
	v_mul_f32_e32 v79, 0x3dbcf732, v6
	v_add_f32_e32 v71, v71, v78
	v_fmac_f32_e32 v76, 0x3f65296c, v65
	v_mul_f32_e32 v78, 0xbe8c1d8e, v63
	v_add_f32_e32 v72, v77, v72
	v_fmamk_f32 v77, v67, 0x3f7ee86f, v79
	v_mul_f32_e32 v80, 0xbf1a4643, v42
	v_add_f32_e32 v71, v76, v71
	v_fmamk_f32 v76, v58, 0x3f763a35, v78
	;; [unrolled: 3-line block ×5, first 2 shown]
	v_fmac_f32_e32 v73, 0xbf06c442, v66
	v_fmac_f32_e32 v78, 0xbf763a35, v58
	v_add_f32_e32 v72, v76, v72
	v_fmamk_f32 v76, v65, 0x3e3c28d5, v83
	v_add_f32_e32 v75, v75, v77
	v_mul_f32_e32 v77, 0x3f3d2fb0, v63
	v_add_f32_e32 v73, v8, v73
	v_fmac_f32_e32 v74, 0x3f65296c, v68
	v_add_f32_e32 v71, v71, v78
	v_add_f32_e32 v75, v76, v75
	v_fmamk_f32 v76, v58, 0xbf2c7751, v77
	v_mul_f32_e32 v78, 0xbf1a4643, v0
	v_add_f32_e32 v73, v74, v73
	v_fmac_f32_e32 v79, 0xbf7ee86f, v67
	v_fmac_f32_e32 v81, 0x3f7ee86f, v59
	v_add_f32_e32 v74, v75, v76
	v_fmamk_f32 v75, v66, 0x3f4c4adb, v78
	v_mul_f32_e32 v76, 0xbe8c1d8e, v3
	v_add_f32_e32 v73, v79, v73
	v_fmac_f32_e32 v80, 0x3f4c4adb, v69
	v_add_f32_e32 v71, v81, v71
	v_mul_f32_e32 v79, 0xbe8c1d8e, v64
	v_add_f32_e32 v75, v8, v75
	v_fmamk_f32 v81, v68, 0xbf763a35, v76
	v_mul_f32_e32 v84, 0x3f6eb680, v6
	v_add_f32_e32 v73, v80, v73
	v_fmac_f32_e32 v82, 0xbeb8f4ab, v70
	v_fmamk_f32 v80, v59, 0x3f763a35, v79
	v_add_f32_e32 v75, v81, v75
	v_fmamk_f32 v81, v67, 0x3eb8f4ab, v84
	v_mul_f32_e32 v85, 0xbf59a7d5, v42
	v_add_f32_e32 v73, v73, v82
	v_fmac_f32_e32 v83, 0xbe3c28d5, v65
	v_add_f32_e32 v74, v80, v74
	v_add_f32_e32 v75, v81, v75
	v_fmamk_f32 v80, v69, 0x3f06c442, v85
	v_mul_f32_e32 v81, 0x3dbcf732, v57
	v_add_f32_e32 v73, v83, v73
	v_fmac_f32_e32 v77, 0x3f2c7751, v58
	v_fmac_f32_e32 v78, 0xbf4c4adb, v66
	v_add_f32_e32 v75, v80, v75
	v_fmamk_f32 v80, v70, 0xbf7ee86f, v81
	v_mul_f32_e32 v82, 0x3f3d2fb0, v62
	v_add_f32_e32 v73, v73, v77
	v_add_f32_e32 v77, v8, v78
	v_fmac_f32_e32 v76, 0x3f763a35, v68
	v_add_f32_e32 v75, v75, v80
	v_fmamk_f32 v78, v65, 0x3f2c7751, v82
	v_mul_f32_e32 v80, 0xbf7ba420, v63
	v_fmac_f32_e32 v84, 0xbeb8f4ab, v67
	v_add_f32_e32 v76, v76, v77
	v_fmac_f32_e32 v79, 0xbf763a35, v59
	v_add_f32_e32 v75, v78, v75
	v_fmamk_f32 v77, v58, 0x3e3c28d5, v80
	v_mul_f32_e32 v78, 0xbe8c1d8e, v0
	v_add_f32_e32 v76, v84, v76
	v_fmac_f32_e32 v85, 0xbf06c442, v69
	v_add_f32_e32 v73, v79, v73
	v_add_f32_e32 v75, v75, v77
	v_mul_f32_e32 v77, 0x3ee437d1, v64
	v_fmamk_f32 v79, v66, 0x3f763a35, v78
	v_mul_f32_e32 v83, 0xbf59a7d5, v3
	v_add_f32_e32 v76, v85, v76
	v_fmac_f32_e32 v81, 0x3f7ee86f, v70
	v_fmamk_f32 v84, v59, 0xbf65296c, v77
	v_add_f32_e32 v79, v8, v79
	v_fmamk_f32 v85, v68, 0xbf06c442, v83
	v_mul_f32_e32 v86, 0x3f3d2fb0, v6
	v_add_f32_e32 v76, v76, v81
	v_fmac_f32_e32 v82, 0xbf2c7751, v65
	v_fmac_f32_e32 v78, 0xbf763a35, v66
	v_add_f32_e32 v75, v84, v75
	v_add_f32_e32 v79, v85, v79
	v_fmamk_f32 v81, v67, 0xbf2c7751, v86
	v_mul_f32_e32 v84, 0x3ee437d1, v42
	v_add_f32_e32 v76, v82, v76
	v_fmac_f32_e32 v80, 0xbe3c28d5, v58
	v_add_f32_e32 v78, v8, v78
	v_fmac_f32_e32 v83, 0x3f06c442, v68
	v_add_f32_e32 v79, v81, v79
	v_fmamk_f32 v81, v69, 0x3f65296c, v84
	v_mul_f32_e32 v82, 0xbf7ba420, v57
	v_add_f32_e32 v76, v76, v80
	v_fmac_f32_e32 v77, 0x3f65296c, v59
	v_add_f32_e32 v78, v83, v78
	v_fmac_f32_e32 v86, 0x3f2c7751, v67
	v_add_f32_e32 v79, v81, v79
	v_fmamk_f32 v80, v70, 0x3e3c28d5, v82
	v_mul_f32_e32 v81, 0x3dbcf732, v62
	v_add_f32_e32 v76, v77, v76
	v_add_f32_e32 v77, v86, v78
	v_fmac_f32_e32 v84, 0xbf65296c, v69
	v_add_f32_e32 v79, v79, v80
	v_fmamk_f32 v80, v65, 0xbf7ee86f, v81
	v_mul_f32_e32 v85, 0x3f6eb680, v63
	v_fmac_f32_e32 v82, 0xbe3c28d5, v70
	v_add_f32_e32 v77, v84, v77
	v_fmac_f32_e32 v81, 0x3f7ee86f, v65
	v_add_f32_e32 v78, v80, v79
	v_fmamk_f32 v87, v58, 0x3eb8f4ab, v85
	v_mul_f32_e32 v88, 0xbf1a4643, v64
	v_add_f32_e32 v77, v77, v82
	v_mul_f32_e32 v83, 0x3dbcf732, v0
	v_fmac_f32_e32 v85, 0xbeb8f4ab, v58
	v_add_f32_e32 v78, v78, v87
	v_fmamk_f32 v87, v59, 0x3f4c4adb, v88
	v_add_f32_e32 v77, v81, v77
	v_fmamk_f32 v79, v66, 0x3f7ee86f, v83
	v_mul_f32_e32 v80, 0xbf7ba420, v3
	v_fmac_f32_e32 v88, 0xbf4c4adb, v59
	v_add_f32_e32 v78, v87, v78
	v_add_f32_e32 v77, v77, v85
	v_fmac_f32_e32 v83, 0xbf7ee86f, v66
	v_mul_f32_e32 v87, 0x3ee437d1, v0
	v_add_f32_e32 v79, v8, v79
	v_fmamk_f32 v84, v68, 0x3e3c28d5, v80
	v_mul_f32_e32 v86, 0xbe8c1d8e, v6
	v_add_f32_e32 v77, v88, v77
	v_add_f32_e32 v83, v8, v83
	v_fmac_f32_e32 v80, 0xbe3c28d5, v68
	v_fmamk_f32 v88, v66, 0x3f65296c, v87
	v_mul_f32_e32 v89, 0xbf1a4643, v3
	v_fmac_f32_e32 v87, 0xbf65296c, v66
	v_add_f32_e32 v79, v84, v79
	v_fmamk_f32 v82, v67, 0xbf763a35, v86
	v_mul_f32_e32 v84, 0x3f6eb680, v42
	v_add_f32_e32 v80, v80, v83
	v_fmac_f32_e32 v86, 0x3f763a35, v67
	v_fmamk_f32 v90, v68, 0x3f4c4adb, v89
	v_mul_f32_e32 v91, 0xbf7ba420, v6
	v_fmac_f32_e32 v89, 0xbf4c4adb, v68
	v_add_f32_e32 v68, v8, v87
	v_add_f32_e32 v79, v82, v79
	v_fmamk_f32 v81, v69, 0xbeb8f4ab, v84
	v_mul_f32_e32 v82, 0x3ee437d1, v57
	v_add_f32_e32 v88, v8, v88
	v_add_f32_e32 v80, v86, v80
	v_fmac_f32_e32 v84, 0x3eb8f4ab, v69
	v_fmamk_f32 v86, v67, 0xbe3c28d5, v91
	v_mul_f32_e32 v87, 0xbe8c1d8e, v42
	v_add_f32_e32 v68, v89, v68
	v_fmac_f32_e32 v91, 0x3e3c28d5, v67
	v_add_f32_e32 v79, v81, v79
	v_fmamk_f32 v81, v70, 0x3f65296c, v82
	v_add_f32_e32 v66, v90, v88
	v_add_f32_e32 v80, v84, v80
	v_fmac_f32_e32 v82, 0xbf65296c, v70
	v_fmamk_f32 v84, v69, 0xbf763a35, v87
	v_mul_f32_e32 v67, 0x3f3d2fb0, v57
	v_add_f32_e32 v68, v91, v68
	v_fmac_f32_e32 v87, 0x3f763a35, v69
	v_add_f32_e32 v66, v86, v66
	v_add_f32_e32 v80, v80, v82
	v_fmamk_f32 v82, v70, 0xbf2c7751, v67
	v_fmac_f32_e32 v67, 0x3f2c7751, v70
	v_add_f32_e32 v68, v87, v68
	v_mul_f32_e32 v85, 0xbf59a7d5, v62
	v_add_f32_e32 v66, v84, v66
	v_mul_f32_e32 v69, 0x3f6eb680, v62
	v_add_f32_e32 v79, v79, v81
	v_add_f32_e32 v67, v68, v67
	v_add_f32_e32 v68, v8, v14
	v_fmamk_f32 v81, v65, 0x3f06c442, v85
	v_fmac_f32_e32 v85, 0xbf06c442, v65
	v_add_f32_e32 v66, v66, v82
	v_fmamk_f32 v82, v65, 0x3eb8f4ab, v69
	v_fmac_f32_e32 v69, 0xbeb8f4ab, v65
	v_mul_f32_e32 v65, 0x3dbcf732, v3
	v_add_f32_e32 v68, v68, v12
	v_add_f32_e32 v79, v81, v79
	v_mul_f32_e32 v81, 0xbf1a4643, v63
	v_mul_f32_e32 v3, 0x3f3d2fb0, v3
	v_add_f32_e32 v52, v52, v65
	v_add_f32_e32 v65, v68, v10
	;; [unrolled: 1-line block ×3, first 2 shown]
	v_fmamk_f32 v83, v58, 0xbf4c4adb, v81
	v_fmac_f32_e32 v81, 0x3f4c4adb, v58
	v_add_f32_e32 v3, v46, v3
	v_add_f32_e32 v65, v65, v22
	v_mul_f32_e32 v68, 0xbf1a4643, v6
	v_add_f32_e32 v70, v79, v83
	v_add_f32_e32 v79, v80, v81
	v_mul_f32_e32 v81, 0x3f3d2fb0, v0
	v_add_f32_e32 v46, v65, v20
	v_mul_f32_e32 v0, 0x3f6eb680, v0
	v_mul_f32_e32 v6, 0x3ee437d1, v6
	;; [unrolled: 1-line block ×3, first 2 shown]
	v_add_f32_e32 v51, v51, v81
	v_add_f32_e32 v46, v46, v18
	;; [unrolled: 1-line block ×8, first 2 shown]
	v_mul_f32_e32 v7, 0xbf1a4643, v62
	v_mul_f32_e32 v53, 0x3ee437d1, v63
	v_add_f32_e32 v51, v52, v51
	v_add_f32_e32 v46, v46, v28
	v_add_f32_e32 v0, v3, v0
	v_mul_f32_e32 v3, 0xbe8c1d8e, v57
	v_mul_f32_e32 v52, 0xbe8c1d8e, v62
	v_add_f32_e32 v8, v43, v51
	v_add_f32_e32 v46, v46, v26
	v_mul_f32_e32 v43, 0x3dbcf732, v42
	v_mul_f32_e32 v42, 0xbf7ba420, v42
	;; [unrolled: 1-line block ×3, first 2 shown]
	v_add_f32_e32 v0, v6, v0
	v_add_f32_e32 v46, v46, v36
	;; [unrolled: 1-line block ×9, first 2 shown]
	v_mul_f32_e32 v50, 0xbf59a7d5, v63
	v_mul_f32_e32 v6, 0xbf7ba420, v64
	v_add_f32_e32 v46, v40, v46
	v_add_f32_e32 v0, v0, v3
	;; [unrolled: 1-line block ×11, first 2 shown]
	v_fmamk_f32 v82, v58, 0x3f7ee86f, v80
	v_add_f32_e32 v67, v69, v67
	v_mul_f32_e32 v42, 0x3f6eb680, v64
	v_mul_f32_e32 v57, 0xbf59a7d5, v64
	v_fmac_f32_e32 v80, 0xbf7ee86f, v58
	v_add_f32_e32 v46, v55, v53
	v_mul_f32_e32 v45, 0x3f3d2fb0, v64
	v_add_f32_e32 v0, v0, v3
	v_add_f32_e32 v3, v60, v6
	;; [unrolled: 1-line block ×3, first 2 shown]
	v_fmamk_f32 v44, v59, 0x3f06c442, v57
	v_add_f32_e32 v47, v67, v80
	v_fmac_f32_e32 v57, 0xbf06c442, v59
	v_add_f32_e32 v7, v7, v46
	v_add_f32_e32 v8, v61, v42
	v_fmamk_f32 v43, v59, 0xbf2c7751, v45
	v_fmac_f32_e32 v45, 0x3f2c7751, v59
	v_add_f32_e32 v66, v66, v82
	v_add_f32_e32 v0, v3, v0
	;; [unrolled: 1-line block ×3, first 2 shown]
	v_mad_u32_u24 v6, 0x44, v56, 0
	v_add_f32_e32 v42, v57, v47
	v_add_f32_e32 v7, v8, v7
	;; [unrolled: 1-line block ×5, first 2 shown]
	ds_write2_b32 v6, v3, v0 offset1:1
	ds_write2_b32 v6, v7, v42 offset0:2 offset1:3
	ds_write2_b32 v6, v8, v77 offset0:4 offset1:5
	;; [unrolled: 1-line block ×7, first 2 shown]
	ds_write_b32 v6, v2 offset:64
.LBB0_13:
	s_or_b32 exec_lo, exec_lo, s1
	v_sub_f32_e32 v77, v14, v32
	v_add_f32_e32 v72, v15, v33
	v_sub_f32_e32 v69, v12, v30
	v_add_f32_e32 v68, v13, v31
	v_sub_f32_e32 v65, v10, v34
	v_mul_f32_e32 v75, 0xbeb8f4ab, v77
	v_mul_f32_e32 v76, 0xbf2c7751, v77
	;; [unrolled: 1-line block ×4, first 2 shown]
	v_add_f32_e32 v64, v11, v35
	v_fmamk_f32 v0, v72, 0x3f6eb680, v75
	v_fmamk_f32 v3, v72, 0x3f3d2fb0, v76
	;; [unrolled: 1-line block ×3, first 2 shown]
	v_mul_f32_e32 v71, 0xbf65296c, v65
	v_sub_f32_e32 v61, v22, v38
	v_add_f32_e32 v0, v9, v0
	v_fmamk_f32 v7, v68, 0x3dbcf732, v73
	v_add_f32_e32 v3, v9, v3
	v_mul_f32_e32 v70, 0xbf4c4adb, v65
	v_add_f32_e32 v60, v23, v39
	v_add_f32_e32 v0, v6, v0
	v_fmamk_f32 v6, v64, 0x3ee437d1, v71
	v_mul_f32_e32 v67, 0xbf7ee86f, v61
	v_sub_f32_e32 v40, v20, v40
	v_add_f32_e32 v3, v7, v3
	v_fmamk_f32 v7, v64, 0xbf1a4643, v70
	v_mul_f32_e32 v66, 0xbe3c28d5, v61
	v_add_f32_e32 v0, v6, v0
	v_fmamk_f32 v6, v60, 0x3dbcf732, v67
	v_add_f32_e32 v38, v21, v41
	v_mul_f32_e32 v63, 0xbf763a35, v40
	v_sub_f32_e32 v30, v18, v24
	v_add_f32_e32 v3, v7, v3
	v_fmamk_f32 v7, v60, 0xbf7ba420, v66
	v_mul_f32_e32 v62, 0x3f06c442, v40
	v_add_f32_e32 v0, v6, v0
	v_fmamk_f32 v6, v38, 0xbe8c1d8e, v63
	v_add_f32_e32 v24, v19, v25
	v_mul_f32_e32 v59, 0xbf4c4adb, v30
	v_add_f32_e32 v3, v7, v3
	v_fmamk_f32 v7, v38, 0xbf59a7d5, v62
	v_mul_f32_e32 v57, 0x3f763a35, v30
	v_add_f32_e32 v0, v0, v6
	v_fmamk_f32 v6, v24, 0xbf1a4643, v59
	v_lshl_add_u32 v58, v56, 2, 0
	v_add_f32_e32 v3, v3, v7
	v_fmamk_f32 v7, v24, 0xbe8c1d8e, v57
	v_sub_f32_e32 v18, v16, v36
	v_add_f32_e32 v8, v6, v0
	v_add_nc_u32_e32 v6, 0x1200, v58
	v_add_nc_u32_e32 v20, 0xa00, v58
	v_add_f32_e32 v7, v7, v3
	v_add_nc_u32_e32 v3, 0x600, v58
	v_add_nc_u32_e32 v16, 0x200, v58
	v_sub_f32_e32 v10, v28, v26
	v_add_nc_u32_e32 v26, 0x1600, v58
	v_add_nc_u32_e32 v22, 0xe00, v58
	s_waitcnt lgkmcnt(0)
	s_barrier
	buffer_gl0_inv
	ds_read2_b32 v[44:45], v58 offset1:119
	ds_read2_b32 v[42:43], v3 offset0:92 offset1:211
	ds_read2_b32 v[48:49], v6 offset0:38 offset1:157
	;; [unrolled: 1-line block ×6, first 2 shown]
	ds_read_b32 v0, v58 offset:6664
	v_add_f32_e32 v14, v17, v37
	v_mul_f32_e32 v34, 0xbf06c442, v18
	v_mul_f32_e32 v36, 0x3f65296c, v18
	v_add_f32_e32 v12, v29, v27
	v_mul_f32_e32 v32, 0xbe3c28d5, v10
	v_mul_f32_e32 v28, 0x3eb8f4ab, v10
	v_fmamk_f32 v78, v14, 0xbf59a7d5, v34
	v_fmamk_f32 v79, v14, 0x3ee437d1, v36
	s_waitcnt lgkmcnt(0)
	s_barrier
	buffer_gl0_inv
	v_add_f32_e32 v8, v8, v78
	v_add_f32_e32 v7, v7, v79
	v_fmamk_f32 v78, v12, 0xbf7ba420, v32
	v_fmamk_f32 v79, v12, 0x3f6eb680, v28
	v_add_f32_e32 v8, v78, v8
	v_add_f32_e32 v7, v79, v7
	s_and_saveexec_b32 s1, s0
	s_cbranch_execz .LBB0_15
; %bb.14:
	v_add_f32_e32 v15, v9, v15
	v_mul_f32_e32 v78, 0x3f6eb680, v72
	v_mul_f32_e32 v79, 0x3f3d2fb0, v72
	;; [unrolled: 1-line block ×4, first 2 shown]
	v_add_f32_e32 v13, v15, v13
	v_mul_f32_e32 v92, 0xbf763a35, v77
	v_mul_f32_e32 v93, 0xbf4c4adb, v77
	v_sub_f32_e32 v75, v78, v75
	v_mul_f32_e32 v81, 0x3dbcf732, v68
	v_add_f32_e32 v11, v13, v11
	v_mul_f32_e32 v94, 0xbf4c4adb, v69
	v_mul_f32_e32 v95, 0xbe3c28d5, v69
	v_sub_f32_e32 v76, v79, v76
	v_fma_f32 v79, 0xbe8c1d8e, v72, -v92
	v_add_f32_e32 v11, v11, v23
	v_fmac_f32_e32 v92, 0xbe8c1d8e, v72
	v_mul_f32_e32 v15, 0x3ee437d1, v64
	v_mul_f32_e32 v82, 0xbf1a4643, v64
	;; [unrolled: 1-line block ×3, first 2 shown]
	v_add_f32_e32 v11, v11, v21
	v_mul_f32_e32 v21, 0xbf65296c, v77
	v_sub_f32_e32 v15, v15, v71
	v_mul_f32_e32 v84, 0xbf7ba420, v60
	v_mul_f32_e32 v13, 0xbe8c1d8e, v38
	v_add_f32_e32 v11, v11, v19
	v_mul_f32_e32 v19, 0xbf06c442, v77
	v_mul_f32_e32 v77, 0xbe3c28d5, v77
	v_fma_f32 v78, 0x3ee437d1, v72, -v21
	v_fmac_f32_e32 v21, 0x3ee437d1, v72
	v_add_f32_e32 v11, v11, v17
	v_fma_f32 v96, 0xbf59a7d5, v72, -v19
	v_fmac_f32_e32 v19, 0xbf59a7d5, v72
	v_mul_f32_e32 v17, 0x3f06c442, v69
	v_add_f32_e32 v21, v9, v21
	v_add_f32_e32 v11, v11, v29
	v_fma_f32 v29, 0x3dbcf732, v72, -v91
	v_fmac_f32_e32 v91, 0x3dbcf732, v72
	v_add_f32_e32 v19, v9, v19
	v_mul_f32_e32 v85, 0xbf59a7d5, v38
	v_add_f32_e32 v11, v11, v27
	v_fma_f32 v27, 0xbf1a4643, v72, -v93
	v_fmac_f32_e32 v93, 0xbf1a4643, v72
	v_add_f32_e32 v29, v9, v29
	v_sub_f32_e32 v13, v13, v63
	v_add_f32_e32 v11, v11, v37
	v_fma_f32 v37, 0xbf7ba420, v72, -v77
	v_fmac_f32_e32 v77, 0xbf7ba420, v72
	v_sub_f32_e32 v72, v80, v74
	v_fma_f32 v74, 0xbf7ba420, v68, -v95
	v_add_f32_e32 v11, v25, v11
	v_sub_f32_e32 v25, v81, v73
	v_fma_f32 v73, 0xbf1a4643, v68, -v94
	v_add_f32_e32 v27, v9, v27
	v_add_f32_e32 v29, v74, v29
	;; [unrolled: 1-line block ×11, first 2 shown]
	v_fmac_f32_e32 v94, 0xbf1a4643, v68
	v_add_f32_e32 v11, v35, v11
	v_add_f32_e32 v35, v9, v93
	v_add_f32_e32 v25, v25, v75
	v_fmac_f32_e32 v95, 0xbf7ba420, v68
	v_add_f32_e32 v21, v94, v21
	v_add_f32_e32 v11, v31, v11
	;; [unrolled: 1-line block ×4, first 2 shown]
	v_mul_f32_e32 v72, 0x3f763a35, v69
	v_add_f32_e32 v9, v9, v77
	v_add_f32_e32 v11, v33, v11
	;; [unrolled: 1-line block ×3, first 2 shown]
	v_mul_f32_e32 v73, 0x3f65296c, v69
	v_fma_f32 v74, 0xbe8c1d8e, v68, -v72
	v_fmac_f32_e32 v72, 0xbe8c1d8e, v68
	v_mul_f32_e32 v69, 0x3eb8f4ab, v69
	v_fma_f32 v41, 0xbf59a7d5, v68, -v17
	v_fmac_f32_e32 v17, 0xbf59a7d5, v68
	v_fma_f32 v75, 0x3ee437d1, v68, -v73
	v_add_f32_e32 v35, v72, v35
	v_fma_f32 v72, 0x3f6eb680, v68, -v69
	v_fmac_f32_e32 v69, 0x3f6eb680, v68
	v_fmac_f32_e32 v73, 0x3ee437d1, v68
	v_mul_f32_e32 v68, 0x3e3c28d5, v65
	v_add_f32_e32 v15, v15, v37
	v_mul_f32_e32 v37, 0x3f763a35, v65
	v_add_f32_e32 v9, v69, v9
	v_sub_f32_e32 v69, v82, v70
	v_fma_f32 v70, 0xbf7ba420, v64, -v68
	v_fmac_f32_e32 v68, 0xbf7ba420, v64
	v_add_f32_e32 v39, v95, v39
	v_add_f32_e32 v41, v41, v78
	;; [unrolled: 1-line block ×3, first 2 shown]
	v_mul_f32_e32 v69, 0x3f2c7751, v65
	v_fma_f32 v71, 0xbe8c1d8e, v64, -v37
	v_add_f32_e32 v21, v68, v21
	v_fmac_f32_e32 v37, 0xbe8c1d8e, v64
	v_add_f32_e32 v17, v17, v79
	v_fma_f32 v68, 0x3f3d2fb0, v64, -v69
	v_add_f32_e32 v33, v70, v33
	v_mul_f32_e32 v70, 0xbeb8f4ab, v65
	v_fmac_f32_e32 v69, 0x3f3d2fb0, v64
	v_add_f32_e32 v37, v37, v39
	v_add_f32_e32 v39, v68, v41
	v_mul_f32_e32 v41, 0xbf7ee86f, v65
	v_add_f32_e32 v27, v74, v27
	v_add_f32_e32 v19, v73, v19
	v_fma_f32 v68, 0x3f6eb680, v64, -v70
	v_add_f32_e32 v17, v69, v17
	v_mul_f32_e32 v65, 0xbf06c442, v65
	v_fma_f32 v69, 0x3dbcf732, v64, -v41
	v_fmac_f32_e32 v41, 0x3dbcf732, v64
	v_add_f32_e32 v27, v68, v27
	v_fmac_f32_e32 v70, 0x3f6eb680, v64
	v_fma_f32 v68, 0xbf59a7d5, v64, -v65
	v_fmac_f32_e32 v65, 0xbf59a7d5, v64
	v_add_f32_e32 v19, v41, v19
	v_sub_f32_e32 v41, v83, v67
	v_mul_f32_e32 v64, 0x3f763a35, v61
	v_add_f32_e32 v31, v72, v31
	v_add_f32_e32 v9, v65, v9
	v_sub_f32_e32 v65, v84, v66
	v_add_f32_e32 v15, v41, v15
	v_mul_f32_e32 v41, 0x3eb8f4ab, v61
	v_fma_f32 v66, 0xbe8c1d8e, v60, -v64
	v_fmac_f32_e32 v64, 0xbe8c1d8e, v60
	v_add_f32_e32 v25, v65, v25
	v_mul_f32_e32 v65, 0xbf65296c, v61
	v_fma_f32 v67, 0x3f6eb680, v60, -v41
	v_fmac_f32_e32 v41, 0x3f6eb680, v60
	v_add_f32_e32 v33, v66, v33
	v_add_f32_e32 v21, v64, v21
	v_fma_f32 v64, 0x3ee437d1, v60, -v65
	v_mul_f32_e32 v66, 0xbf06c442, v61
	v_fmac_f32_e32 v65, 0x3ee437d1, v60
	v_add_f32_e32 v37, v41, v37
	v_mul_f32_e32 v41, 0x3f4c4adb, v61
	v_add_f32_e32 v39, v64, v39
	v_fma_f32 v64, 0xbf59a7d5, v60, -v66
	v_add_f32_e32 v17, v65, v17
	v_mul_f32_e32 v61, 0x3f2c7751, v61
	v_fma_f32 v65, 0xbf1a4643, v60, -v41
	v_fmac_f32_e32 v41, 0xbf1a4643, v60
	v_fmac_f32_e32 v66, 0xbf59a7d5, v60
	v_add_f32_e32 v27, v64, v27
	v_fma_f32 v64, 0x3f3d2fb0, v60, -v61
	v_fmac_f32_e32 v61, 0x3f3d2fb0, v60
	v_add_f32_e32 v19, v41, v19
	v_mul_f32_e32 v41, 0x3f2c7751, v40
	v_sub_f32_e32 v60, v85, v62
	v_add_f32_e32 v13, v15, v13
	v_add_f32_e32 v9, v61, v9
	v_mul_f32_e32 v15, 0xbf65296c, v40
	v_fma_f32 v61, 0x3f3d2fb0, v38, -v41
	v_fmac_f32_e32 v41, 0x3f3d2fb0, v38
	v_add_f32_e32 v25, v25, v60
	v_mul_f32_e32 v60, 0xbe3c28d5, v40
	v_fma_f32 v62, 0x3ee437d1, v38, -v15
	v_add_f32_e32 v33, v33, v61
	v_add_f32_e32 v21, v21, v41
	v_fmac_f32_e32 v15, 0x3ee437d1, v38
	v_fma_f32 v41, 0xbf7ba420, v38, -v60
	v_mul_f32_e32 v61, 0x3f7ee86f, v40
	v_fmac_f32_e32 v60, 0xbf7ba420, v38
	v_mul_f32_e32 v86, 0xbf1a4643, v24
	v_add_f32_e32 v15, v37, v15
	v_add_f32_e32 v37, v39, v41
	v_mul_f32_e32 v39, 0xbeb8f4ab, v40
	v_fma_f32 v41, 0x3dbcf732, v38, -v61
	v_mul_f32_e32 v40, 0xbf4c4adb, v40
	v_mul_f32_e32 v87, 0xbe8c1d8e, v24
	v_add_f32_e32 v31, v68, v31
	v_add_f32_e32 v17, v17, v60
	v_fma_f32 v60, 0x3f6eb680, v38, -v39
	v_add_f32_e32 v27, v27, v41
	v_fmac_f32_e32 v39, 0x3f6eb680, v38
	v_fma_f32 v41, 0xbf1a4643, v38, -v40
	v_fmac_f32_e32 v40, 0xbf1a4643, v38
	v_add_f32_e32 v31, v64, v31
	v_fmac_f32_e32 v61, 0x3dbcf732, v38
	v_add_f32_e32 v19, v19, v39
	v_sub_f32_e32 v38, v86, v59
	v_mul_f32_e32 v39, 0xbeb8f4ab, v30
	v_add_f32_e32 v9, v9, v40
	v_sub_f32_e32 v40, v87, v57
	v_add_f32_e32 v31, v31, v41
	v_add_f32_e32 v13, v38, v13
	v_mul_f32_e32 v38, 0xbf06c442, v30
	v_fma_f32 v41, 0x3f6eb680, v24, -v39
	v_fmac_f32_e32 v39, 0x3f6eb680, v24
	v_add_f32_e32 v25, v40, v25
	v_mul_f32_e32 v40, 0x3f7ee86f, v30
	v_fma_f32 v57, 0xbf59a7d5, v24, -v38
	v_add_f32_e32 v33, v41, v33
	v_add_f32_e32 v21, v39, v21
	v_fmac_f32_e32 v38, 0xbf59a7d5, v24
	v_fma_f32 v39, 0x3dbcf732, v24, -v40
	v_mul_f32_e32 v41, 0xbf2c7751, v30
	v_mul_f32_e32 v23, 0xbf59a7d5, v14
	v_add_f32_e32 v29, v71, v29
	v_add_f32_e32 v15, v38, v15
	;; [unrolled: 1-line block ×3, first 2 shown]
	v_mul_f32_e32 v38, 0xbe3c28d5, v30
	v_fma_f32 v39, 0x3f3d2fb0, v24, -v41
	v_mul_f32_e32 v30, 0x3f65296c, v30
	v_fmac_f32_e32 v40, 0x3dbcf732, v24
	v_mul_f32_e32 v88, 0x3ee437d1, v14
	v_add_f32_e32 v35, v70, v35
	v_add_f32_e32 v27, v39, v27
	v_fma_f32 v39, 0x3ee437d1, v24, -v30
	v_add_f32_e32 v29, v67, v29
	v_add_f32_e32 v17, v40, v17
	v_fmac_f32_e32 v41, 0x3f3d2fb0, v24
	v_fma_f32 v40, 0xbf7ba420, v24, -v38
	v_fmac_f32_e32 v38, 0xbf7ba420, v24
	v_fmac_f32_e32 v30, 0x3ee437d1, v24
	v_add_f32_e32 v24, v39, v31
	v_sub_f32_e32 v23, v23, v34
	v_mul_f32_e32 v31, 0xbf7ee86f, v18
	v_add_f32_e32 v35, v66, v35
	v_add_f32_e32 v29, v29, v62
	;; [unrolled: 1-line block ×3, first 2 shown]
	v_sub_f32_e32 v30, v88, v36
	v_mul_f32_e32 v34, 0x3f4c4adb, v18
	v_add_f32_e32 v13, v13, v23
	v_fma_f32 v23, 0x3dbcf732, v14, -v31
	v_fmac_f32_e32 v31, 0x3dbcf732, v14
	v_add_f32_e32 v35, v35, v61
	v_add_f32_e32 v29, v57, v29
	;; [unrolled: 1-line block ×3, first 2 shown]
	v_fma_f32 v30, 0xbf1a4643, v14, -v34
	v_mul_f32_e32 v36, 0xbeb8f4ab, v18
	v_add_f32_e32 v21, v21, v31
	v_fmac_f32_e32 v34, 0xbf1a4643, v14
	v_mul_f32_e32 v31, 0xbe3c28d5, v18
	v_mul_f32_e32 v89, 0xbf7ba420, v12
	;; [unrolled: 1-line block ×3, first 2 shown]
	v_add_f32_e32 v74, v75, v80
	v_add_f32_e32 v35, v41, v35
	;; [unrolled: 1-line block ×4, first 2 shown]
	v_fma_f32 v30, 0x3f6eb680, v14, -v36
	v_fmac_f32_e32 v36, 0x3f6eb680, v14
	v_add_f32_e32 v15, v15, v34
	v_mul_f32_e32 v33, 0x3f2c7751, v18
	v_fma_f32 v34, 0xbf7ba420, v14, -v31
	v_fmac_f32_e32 v31, 0xbf7ba420, v14
	v_mul_f32_e32 v18, 0xbf763a35, v18
	v_add_f32_e32 v69, v69, v74
	v_add_f32_e32 v17, v17, v36
	v_fma_f32 v36, 0x3f3d2fb0, v14, -v33
	v_fmac_f32_e32 v33, 0x3f3d2fb0, v14
	v_add_f32_e32 v31, v35, v31
	v_fma_f32 v35, 0xbe8c1d8e, v14, -v18
	v_fmac_f32_e32 v18, 0xbe8c1d8e, v14
	v_sub_f32_e32 v14, v89, v32
	v_mul_f32_e32 v32, 0xbf06c442, v10
	v_sub_f32_e32 v28, v90, v28
	v_add_f32_e32 v65, v65, v69
	v_add_f32_e32 v19, v38, v19
	;; [unrolled: 1-line block ×4, first 2 shown]
	v_fma_f32 v14, 0xbf59a7d5, v12, -v32
	v_mul_f32_e32 v18, 0x3f2c7751, v10
	v_add_f32_e32 v25, v28, v25
	v_fmac_f32_e32 v32, 0xbf59a7d5, v12
	v_mul_f32_e32 v28, 0xbf4c4adb, v10
	v_add_f32_e32 v60, v65, v60
	v_add_f32_e32 v30, v37, v30
	;; [unrolled: 1-line block ×4, first 2 shown]
	v_fma_f32 v23, 0x3f3d2fb0, v12, -v18
	v_fmac_f32_e32 v18, 0x3f3d2fb0, v12
	v_add_f32_e32 v21, v32, v21
	v_fma_f32 v32, 0xbf1a4643, v12, -v28
	v_mul_f32_e32 v33, 0x3f65296c, v10
	v_add_f32_e32 v40, v40, v60
	v_add_f32_e32 v27, v27, v34
	;; [unrolled: 1-line block ×5, first 2 shown]
	v_fma_f32 v29, 0x3ee437d1, v12, -v33
	v_mul_f32_e32 v30, 0xbf763a35, v10
	v_fmac_f32_e32 v28, 0xbf1a4643, v12
	v_fmac_f32_e32 v33, 0x3ee437d1, v12
	v_mul_f32_e32 v10, 0x3f7ee86f, v10
	v_add_f32_e32 v34, v40, v36
	v_add_f32_e32 v27, v29, v27
	v_fma_f32 v29, 0xbe8c1d8e, v12, -v30
	v_add_f32_e32 v24, v24, v35
	v_add_f32_e32 v17, v28, v17
	;; [unrolled: 1-line block ×3, first 2 shown]
	v_fma_f32 v31, 0x3dbcf732, v12, -v10
	v_fmac_f32_e32 v10, 0x3dbcf732, v12
	v_fmac_f32_e32 v30, 0xbe8c1d8e, v12
	v_lshl_add_u32 v12, v56, 6, v58
	v_add_f32_e32 v29, v29, v34
	v_add_f32_e32 v24, v31, v24
	;; [unrolled: 1-line block ×4, first 2 shown]
	ds_write2_b32 v12, v11, v13 offset1:1
	ds_write2_b32 v12, v25, v14 offset0:2 offset1:3
	ds_write2_b32 v12, v23, v18 offset0:4 offset1:5
	;; [unrolled: 1-line block ×7, first 2 shown]
	ds_write_b32 v12, v8 offset:64
.LBB0_15:
	s_or_b32 exec_lo, exec_lo, s1
	v_and_b32_e32 v15, 0xff, v56
	v_add_nc_u32_e32 v57, 0xee, v56
	v_mov_b32_e32 v10, 0xf0f1
	v_add_nc_u32_e32 v59, 0x77, v56
	v_add_nc_u32_e32 v9, 0x165, v56
	v_mul_lo_u16 v11, 0xf1, v15
	v_add_nc_u32_e32 v13, 0x1dc, v56
	v_mul_u32_u24_sdwa v12, v57, v10 dst_sel:DWORD dst_unused:UNUSED_PAD src0_sel:WORD_0 src1_sel:DWORD
	v_and_b32_e32 v25, 0xff, v59
	v_mov_b32_e32 v14, 4
	v_lshrrev_b16 v19, 12, v11
	v_mul_u32_u24_sdwa v11, v9, v10 dst_sel:DWORD dst_unused:UNUSED_PAD src0_sel:WORD_0 src1_sel:DWORD
	v_lshrrev_b32_e32 v21, 20, v12
	v_mul_u32_u24_sdwa v10, v13, v10 dst_sel:DWORD dst_unused:UNUSED_PAD src0_sel:WORD_0 src1_sel:DWORD
	s_waitcnt lgkmcnt(0)
	v_mul_lo_u16 v12, v19, 17
	v_lshrrev_b32_e32 v41, 20, v11
	v_mul_lo_u16 v11, v21, 17
	v_lshrrev_b32_e32 v71, 20, v10
	s_barrier
	v_sub_nc_u16 v70, v56, v12
	v_mul_lo_u16 v12, 0xf1, v25
	v_mul_lo_u16 v10, v41, 17
	;; [unrolled: 1-line block ×3, first 2 shown]
	v_sub_nc_u16 v72, v57, v11
	v_lshlrev_b32_sdwa v11, v14, v70 dst_sel:DWORD dst_unused:UNUSED_PAD src0_sel:DWORD src1_sel:BYTE_0
	v_lshrrev_b16 v73, 12, v12
	v_sub_nc_u16 v74, v9, v10
	v_sub_nc_u16 v75, v13, v17
	buffer_gl0_inv
	v_lshlrev_b32_sdwa v18, v14, v72 dst_sel:DWORD dst_unused:UNUSED_PAD src0_sel:DWORD src1_sel:WORD_0
	v_mul_lo_u16 v17, v73, 17
	v_lshlrev_b32_sdwa v13, v14, v74 dst_sel:DWORD dst_unused:UNUSED_PAD src0_sel:DWORD src1_sel:WORD_0
	global_load_dwordx4 v[9:12], v11, s[8:9]
	v_mov_b32_e32 v77, 0xa0a1
	global_load_dwordx4 v[27:30], v18, s[8:9]
	v_sub_nc_u16 v76, v59, v17
	global_load_dwordx4 v[31:34], v13, s[8:9]
	v_mul_lo_u16 v15, 0xa1, v15
	v_mov_b32_e32 v79, 0xcc
	v_mov_b32_e32 v92, 2
	v_lshlrev_b32_sdwa v13, v14, v76 dst_sel:DWORD dst_unused:UNUSED_PAD src0_sel:DWORD src1_sel:BYTE_0
	v_mul_u32_u24_sdwa v77, v57, v77 dst_sel:DWORD dst_unused:UNUSED_PAD src0_sel:WORD_0 src1_sel:DWORD
	v_lshrrev_b16 v15, 13, v15
	v_mul_lo_u16 v25, 0xa1, v25
	v_mul_u32_u24_sdwa v19, v19, v79 dst_sel:DWORD dst_unused:UNUSED_PAD src0_sel:WORD_0 src1_sel:DWORD
	global_load_dwordx4 v[60:63], v13, s[8:9]
	v_lshlrev_b32_sdwa v18, v14, v75 dst_sel:DWORD dst_unused:UNUSED_PAD src0_sel:DWORD src1_sel:WORD_0
	v_lshlrev_b32_sdwa v70, v92, v70 dst_sel:DWORD dst_unused:UNUSED_PAD src0_sel:DWORD src1_sel:BYTE_0
	v_lshrrev_b32_e32 v87, 21, v77
	v_mul_u32_u24_e32 v21, 0xcc, v21
	v_mul_lo_u16 v77, v15, 51
	global_load_dwordx4 v[35:38], v18, s[8:9]
	ds_read2_b32 v[13:14], v58 offset1:119
	ds_read2_b32 v[17:18], v3 offset0:92 offset1:211
	ds_read2_b32 v[23:24], v6 offset0:38 offset1:157
	;; [unrolled: 1-line block ×6, first 2 shown]
	ds_read_b32 v78, v58 offset:6664
	v_lshrrev_b16 v25, 13, v25
	v_mul_u32_u24_sdwa v73, v73, v79 dst_sel:DWORD dst_unused:UNUSED_PAD src0_sel:WORD_0 src1_sel:DWORD
	v_lshlrev_b32_sdwa v72, v92, v72 dst_sel:DWORD dst_unused:UNUSED_PAD src0_sel:DWORD src1_sel:WORD_0
	v_add3_u32 v70, 0, v19, v70
	v_lshlrev_b32_sdwa v19, v92, v76 dst_sel:DWORD dst_unused:UNUSED_PAD src0_sel:DWORD src1_sel:BYTE_0
	v_mul_u32_u24_e32 v41, 0xcc, v41
	v_mul_u32_u24_e32 v71, 0xcc, v71
	v_sub_nc_u16 v88, v56, v77
	v_mul_lo_u16 v77, v25, 51
	v_lshlrev_b32_sdwa v74, v92, v74 dst_sel:DWORD dst_unused:UNUSED_PAD src0_sel:DWORD src1_sel:WORD_0
	v_lshlrev_b32_sdwa v75, v92, v75 dst_sel:DWORD dst_unused:UNUSED_PAD src0_sel:DWORD src1_sel:WORD_0
	v_add3_u32 v21, 0, v21, v72
	v_add3_u32 v72, 0, v73, v19
	v_sub_nc_u16 v93, v59, v77
	v_add3_u32 v41, 0, v41, v74
	v_add3_u32 v71, 0, v71, v75
	v_mov_b32_e32 v86, 5
	s_waitcnt vmcnt(0) lgkmcnt(0)
	s_barrier
	buffer_gl0_inv
	v_cmp_gt_u32_e64 s0, 17, v56
	v_lshlrev_b32_sdwa v89, v86, v88 dst_sel:DWORD dst_unused:UNUSED_PAD src0_sel:DWORD src1_sel:BYTE_0
	v_mul_f32_e32 v19, v18, v10
	v_mul_f32_e32 v10, v43, v10
	v_mul_f32_e32 v73, v23, v12
	v_mul_f32_e32 v12, v48, v12
	v_mul_f32_e32 v74, v40, v28
	v_mul_f32_e32 v28, v51, v28
	v_mul_f32_e32 v75, v66, v30
	v_mul_f32_e32 v30, v54, v30
	v_mul_f32_e32 v76, v68, v32
	v_mul_f32_e32 v32, v52, v32
	v_mul_f32_e32 v77, v67, v34
	v_mul_f32_e32 v34, v55, v34
	v_fmac_f32_e32 v19, v43, v9
	v_fma_f32 v9, v18, v9, -v10
	v_fmac_f32_e32 v73, v48, v11
	v_fma_f32 v10, v23, v11, -v12
	v_mul_f32_e32 v11, v39, v61
	v_mul_f32_e32 v12, v50, v61
	;; [unrolled: 1-line block ×8, first 2 shown]
	v_fmac_f32_e32 v74, v51, v27
	v_fma_f32 v27, v40, v27, -v28
	v_fmac_f32_e32 v75, v54, v29
	v_fma_f32 v28, v66, v29, -v30
	v_fma_f32 v29, v68, v31, -v32
	;; [unrolled: 1-line block ×3, first 2 shown]
	v_fmac_f32_e32 v11, v50, v60
	v_fma_f32 v12, v39, v60, -v12
	v_fmac_f32_e32 v18, v49, v62
	v_fma_f32 v23, v24, v62, -v23
	v_add_f32_e32 v32, v19, v73
	v_add_f32_e32 v34, v13, v9
	v_fmac_f32_e32 v76, v52, v31
	v_fmac_f32_e32 v77, v55, v33
	;; [unrolled: 1-line block ×4, first 2 shown]
	v_fma_f32 v31, v69, v35, -v36
	v_fma_f32 v0, v78, v37, -v38
	v_sub_f32_e32 v33, v9, v10
	v_add_f32_e32 v9, v9, v10
	v_add_f32_e32 v24, v44, v19
	v_fma_f32 v32, -0.5, v32, v44
	v_add_f32_e32 v10, v34, v10
	v_add_f32_e32 v34, v11, v18
	v_sub_f32_e32 v44, v12, v23
	v_add_f32_e32 v60, v14, v12
	v_add_f32_e32 v12, v12, v23
	v_add_f32_e32 v36, v74, v75
	v_sub_f32_e32 v37, v27, v28
	v_add_f32_e32 v38, v64, v27
	v_add_f32_e32 v27, v27, v28
	;; [unrolled: 1-line block ×4, first 2 shown]
	v_sub_f32_e32 v19, v19, v73
	v_sub_f32_e32 v48, v29, v30
	v_add_f32_e32 v49, v65, v29
	v_add_f32_e32 v29, v29, v30
	v_sub_f32_e32 v53, v31, v0
	v_add_f32_e32 v54, v17, v31
	v_add_f32_e32 v31, v31, v0
	v_fma_f32 v9, -0.5, v9, v13
	v_add_f32_e32 v13, v45, v11
	v_sub_f32_e32 v11, v11, v18
	v_fmac_f32_e32 v45, -0.5, v34
	v_fmac_f32_e32 v14, -0.5, v12
	v_add_f32_e32 v35, v46, v74
	v_sub_f32_e32 v39, v74, v75
	v_add_f32_e32 v40, v47, v76
	v_add_f32_e32 v51, v42, v79
	v_fma_f32 v36, -0.5, v36, v46
	v_fma_f32 v27, -0.5, v27, v64
	v_fmac_f32_e32 v47, -0.5, v43
	v_fmac_f32_e32 v42, -0.5, v52
	v_sub_f32_e32 v50, v76, v77
	v_sub_f32_e32 v55, v79, v80
	v_add_f32_e32 v24, v24, v73
	v_fmac_f32_e32 v65, -0.5, v29
	v_fmac_f32_e32 v17, -0.5, v31
	v_fmamk_f32 v31, v33, 0xbf5db3d7, v32
	v_fmac_f32_e32 v32, 0x3f5db3d7, v33
	v_fmamk_f32 v33, v19, 0x3f5db3d7, v9
	v_fmac_f32_e32 v9, 0xbf5db3d7, v19
	v_add_f32_e32 v13, v13, v18
	v_add_f32_e32 v34, v60, v23
	v_fmamk_f32 v23, v44, 0xbf5db3d7, v45
	v_fmamk_f32 v43, v11, 0x3f5db3d7, v14
	v_fmac_f32_e32 v45, 0x3f5db3d7, v44
	v_fmac_f32_e32 v14, 0xbf5db3d7, v11
	v_add_f32_e32 v35, v35, v75
	v_add_f32_e32 v28, v38, v28
	;; [unrolled: 1-line block ×3, first 2 shown]
	v_fmamk_f32 v12, v37, 0xbf5db3d7, v36
	v_fmac_f32_e32 v36, 0x3f5db3d7, v37
	v_fmamk_f32 v37, v39, 0x3f5db3d7, v27
	v_fmamk_f32 v18, v48, 0xbf5db3d7, v47
	;; [unrolled: 1-line block ×3, first 2 shown]
	v_add_f32_e32 v38, v40, v77
	v_add_f32_e32 v30, v49, v30
	;; [unrolled: 1-line block ×3, first 2 shown]
	v_fmac_f32_e32 v27, 0xbf5db3d7, v39
	v_fmac_f32_e32 v47, 0x3f5db3d7, v48
	v_fmamk_f32 v39, v50, 0x3f5db3d7, v65
	v_fmac_f32_e32 v65, 0xbf5db3d7, v50
	v_fmac_f32_e32 v42, 0x3f5db3d7, v53
	v_fmamk_f32 v40, v55, 0x3f5db3d7, v17
	v_fmac_f32_e32 v17, 0xbf5db3d7, v55
	ds_write2_b32 v70, v24, v31 offset1:17
	ds_write_b32 v70, v32 offset:136
	ds_write2_b32 v72, v13, v23 offset1:17
	ds_write_b32 v72, v45 offset:136
	;; [unrolled: 2-line block ×5, first 2 shown]
	s_waitcnt lgkmcnt(0)
	s_barrier
	buffer_gl0_inv
	ds_read2_b32 v[18:19], v58 offset1:119
	ds_read2_b32 v[23:24], v16 offset0:110 offset1:229
	ds_read2_b32 v[76:77], v20 offset0:74 offset1:193
	;; [unrolled: 1-line block ×6, first 2 shown]
	ds_read_b32 v11, v58 offset:6664
	s_waitcnt lgkmcnt(0)
	s_barrier
	buffer_gl0_inv
	ds_write2_b32 v70, v10, v33 offset1:17
	ds_write_b32 v70, v9 offset:136
	ds_write2_b32 v72, v34, v43 offset1:17
	ds_write_b32 v72, v14 offset:136
	;; [unrolled: 2-line block ×5, first 2 shown]
	v_mul_lo_u16 v0, v87, 51
	v_lshlrev_b32_sdwa v9, v86, v93 dst_sel:DWORD dst_unused:UNUSED_PAD src0_sel:DWORD src1_sel:BYTE_0
	s_waitcnt lgkmcnt(0)
	s_barrier
	buffer_gl0_inv
	v_sub_nc_u16 v0, v57, v0
	s_clause 0x2
	global_load_dwordx4 v[33:36], v89, s[8:9] offset:272
	global_load_dwordx4 v[60:63], v9, s[8:9] offset:272
	;; [unrolled: 1-line block ×3, first 2 shown]
	v_mov_b32_e32 v12, 0x3fc
	v_lshlrev_b32_sdwa v10, v86, v0 dst_sel:DWORD dst_unused:UNUSED_PAD src0_sel:DWORD src1_sel:WORD_0
	s_clause 0x2
	global_load_dwordx4 v[64:67], v9, s[8:9] offset:288
	global_load_dwordx4 v[68:71], v10, s[8:9] offset:272
	global_load_dwordx4 v[72:75], v10, s[8:9] offset:288
	v_mul_u32_u24_sdwa v13, v15, v12 dst_sel:DWORD dst_unused:UNUSED_PAD src0_sel:WORD_0 src1_sel:DWORD
	v_mul_u32_u24_e32 v17, 0x3fc, v87
	v_mul_u32_u24_sdwa v12, v25, v12 dst_sel:DWORD dst_unused:UNUSED_PAD src0_sel:WORD_0 src1_sel:DWORD
	v_lshlrev_b32_sdwa v21, v92, v88 dst_sel:DWORD dst_unused:UNUSED_PAD src0_sel:DWORD src1_sel:BYTE_0
	v_lshlrev_b32_sdwa v0, v92, v0 dst_sel:DWORD dst_unused:UNUSED_PAD src0_sel:DWORD src1_sel:WORD_0
	v_lshlrev_b32_sdwa v25, v92, v93 dst_sel:DWORD dst_unused:UNUSED_PAD src0_sel:DWORD src1_sel:BYTE_0
	ds_read2_b32 v[14:15], v20 offset0:74 offset1:193
	ds_read2_b32 v[86:87], v22 offset0:56 offset1:175
	;; [unrolled: 1-line block ×6, first 2 shown]
	v_add3_u32 v29, 0, v13, v21
	v_add3_u32 v28, 0, v17, v0
	;; [unrolled: 1-line block ×3, first 2 shown]
	ds_read2_b32 v[12:13], v58 offset1:119
	ds_read_b32 v0, v58 offset:6664
	s_waitcnt vmcnt(0) lgkmcnt(0)
	s_barrier
	buffer_gl0_inv
	v_mul_f32_e32 v51, v14, v36
	v_mul_f32_e32 v50, v10, v34
	;; [unrolled: 1-line block ×14, first 2 shown]
	v_fmac_f32_e32 v51, v76, v35
	v_fmac_f32_e32 v53, v79, v39
	v_mul_f32_e32 v21, v76, v36
	v_mul_f32_e32 v25, v79, v40
	v_mul_f32_e32 v36, v77, v63
	v_fmac_f32_e32 v50, v24, v33
	v_fmac_f32_e32 v55, v80, v41
	v_mul_f32_e32 v34, v82, v61
	v_mul_f32_e32 v42, v84, v65
	v_mul_f32_e32 v43, v81, v67
	;; [unrolled: 5-line block ×3, first 2 shown]
	v_mul_f32_e32 v67, v11, v75
	v_fmac_f32_e32 v46, v82, v60
	v_fmac_f32_e32 v47, v81, v66
	;; [unrolled: 1-line block ×6, first 2 shown]
	v_fma_f32 v52, v10, v33, -v17
	v_fma_f32 v49, v88, v41, -v27
	v_add_f32_e32 v10, v51, v53
	v_fma_f32 v54, v14, v35, -v21
	v_fma_f32 v48, v87, v39, -v25
	;; [unrolled: 1-line block ×3, first 2 shown]
	v_sub_f32_e32 v15, v50, v51
	v_sub_f32_e32 v17, v55, v53
	v_add_f32_e32 v21, v50, v55
	v_fma_f32 v39, v90, v60, -v34
	v_fma_f32 v41, v92, v64, -v42
	;; [unrolled: 1-line block ×3, first 2 shown]
	v_sub_f32_e32 v24, v51, v50
	v_sub_f32_e32 v25, v53, v55
	v_add_f32_e32 v42, v44, v45
	v_fma_f32 v34, v91, v68, -v61
	v_fma_f32 v35, v86, v70, -v63
	;; [unrolled: 1-line block ×4, first 2 shown]
	v_add_f32_e32 v0, v18, v50
	v_add_f32_e32 v64, v46, v47
	;; [unrolled: 1-line block ×4, first 2 shown]
	v_sub_f32_e32 v11, v52, v49
	v_add_f32_e32 v27, v19, v46
	v_sub_f32_e32 v65, v44, v46
	v_sub_f32_e32 v66, v45, v47
	v_fma_f32 v10, -0.5, v10, v18
	v_sub_f32_e32 v14, v54, v48
	v_add_f32_e32 v15, v15, v17
	v_fma_f32 v17, -0.5, v21, v18
	v_sub_f32_e32 v60, v39, v43
	v_add_f32_e32 v67, v23, v37
	v_add_f32_e32 v18, v24, v25
	v_fma_f32 v24, -0.5, v42, v19
	v_sub_f32_e32 v61, v40, v41
	v_sub_f32_e32 v62, v46, v44
	;; [unrolled: 1-line block ×6, first 2 shown]
	v_add_f32_e32 v76, v0, v51
	v_fmac_f32_e32 v19, -0.5, v64
	v_fma_f32 v0, -0.5, v68, v23
	v_fmac_f32_e32 v23, -0.5, v73
	v_sub_f32_e32 v69, v34, v33
	v_add_f32_e32 v21, v27, v44
	v_add_f32_e32 v27, v65, v66
	v_fmamk_f32 v65, v11, 0xbf737871, v10
	v_fmamk_f32 v66, v14, 0x3f737871, v17
	v_fmac_f32_e32 v17, 0xbf737871, v14
	v_fmac_f32_e32 v10, 0x3f737871, v11
	v_add_f32_e32 v42, v67, v31
	v_fmamk_f32 v67, v60, 0xbf737871, v24
	v_sub_f32_e32 v74, v31, v37
	v_sub_f32_e32 v75, v32, v38
	v_add_f32_e32 v25, v62, v63
	v_add_f32_e32 v62, v71, v72
	v_fmac_f32_e32 v24, 0x3f737871, v60
	v_fmamk_f32 v68, v61, 0x3f737871, v19
	v_fmac_f32_e32 v19, 0xbf737871, v61
	v_fmamk_f32 v72, v70, 0x3f737871, v23
	v_fmac_f32_e32 v23, 0xbf737871, v70
	v_add_f32_e32 v64, v76, v53
	v_fmamk_f32 v71, v69, 0xbf737871, v0
	v_fmac_f32_e32 v0, 0x3f737871, v69
	v_fmac_f32_e32 v65, 0xbf167918, v14
	;; [unrolled: 1-line block ×5, first 2 shown]
	v_add_f32_e32 v21, v21, v45
	v_fmac_f32_e32 v67, 0xbf167918, v61
	v_add_f32_e32 v63, v74, v75
	v_add_f32_e32 v42, v42, v32
	v_fmac_f32_e32 v24, 0x3f167918, v61
	v_fmac_f32_e32 v68, 0xbf167918, v60
	;; [unrolled: 1-line block ×4, first 2 shown]
	v_add_f32_e32 v64, v64, v55
	v_fmac_f32_e32 v71, 0xbf167918, v70
	v_fmac_f32_e32 v0, 0x3f167918, v70
	;; [unrolled: 1-line block ×7, first 2 shown]
	v_add_f32_e32 v11, v21, v47
	v_fmac_f32_e32 v67, 0x3e9e377a, v25
	v_add_f32_e32 v14, v42, v38
	v_fmac_f32_e32 v24, 0x3e9e377a, v25
	v_fmac_f32_e32 v68, 0x3e9e377a, v27
	;; [unrolled: 1-line block ×7, first 2 shown]
	ds_write2_b32 v29, v64, v65 offset1:51
	ds_write2_b32 v29, v66, v17 offset0:102 offset1:153
	ds_write_b32 v29, v10 offset:816
	ds_write2_b32 v30, v11, v67 offset1:51
	ds_write2_b32 v30, v68, v19 offset0:102 offset1:153
	ds_write_b32 v30, v24 offset:816
	;; [unrolled: 3-line block ×3, first 2 shown]
	s_waitcnt lgkmcnt(0)
	s_barrier
	buffer_gl0_inv
	ds_read2_b32 v[14:15], v58 offset1:119
	ds_read2_b32 v[18:19], v16 offset0:127 offset1:246
	ds_read2_b32 v[16:17], v3 offset0:126 offset1:245
	;; [unrolled: 1-line block ×6, first 2 shown]
                                        ; implicit-def: $vgpr10
                                        ; implicit-def: $vgpr42
	s_and_saveexec_b32 s1, s0
	s_cbranch_execz .LBB0_17
; %bb.16:
	v_add_nc_u32_e32 v0, 0x3b8, v58
	v_add_nc_u32_e32 v2, 0xbb0, v58
	v_add_nc_u32_e32 v6, 0x13a8, v58
	ds_read2_b32 v[0:1], v0 offset1:255
	ds_read2_b32 v[2:3], v2 offset1:255
	;; [unrolled: 1-line block ×3, first 2 shown]
	ds_read_b32 v42, v58 offset:7072
.LBB0_17:
	s_or_b32 exec_lo, exec_lo, s1
	v_add_f32_e32 v6, v54, v48
	v_add_f32_e32 v60, v12, v52
	v_sub_f32_e32 v50, v50, v55
	v_sub_f32_e32 v51, v51, v53
	;; [unrolled: 1-line block ×3, first 2 shown]
	v_fma_f32 v55, -0.5, v6, v12
	v_sub_f32_e32 v6, v49, v48
	v_add_f32_e32 v60, v60, v54
	v_add_f32_e32 v61, v52, v49
	v_sub_f32_e32 v52, v54, v52
	v_fmamk_f32 v54, v50, 0x3f737871, v55
	v_add_f32_e32 v6, v53, v6
	v_add_f32_e32 v53, v60, v48
	v_fma_f32 v12, -0.5, v61, v12
	v_fmac_f32_e32 v55, 0xbf737871, v50
	v_sub_f32_e32 v48, v48, v49
	v_fmac_f32_e32 v54, 0x3f167918, v51
	v_add_f32_e32 v49, v53, v49
	v_add_f32_e32 v53, v40, v41
	v_fmamk_f32 v60, v51, 0xbf737871, v12
	v_fmac_f32_e32 v55, 0xbf167918, v51
	v_add_f32_e32 v48, v52, v48
	v_fmac_f32_e32 v12, 0x3f737871, v51
	v_add_f32_e32 v51, v13, v39
	v_fma_f32 v52, -0.5, v53, v13
	v_sub_f32_e32 v46, v46, v47
	v_fmac_f32_e32 v54, 0x3e9e377a, v6
	v_fmac_f32_e32 v60, 0x3f167918, v50
	;; [unrolled: 1-line block ×4, first 2 shown]
	v_add_f32_e32 v6, v51, v40
	v_fmamk_f32 v47, v46, 0x3f737871, v52
	v_sub_f32_e32 v44, v44, v45
	v_sub_f32_e32 v45, v39, v40
	;; [unrolled: 1-line block ×3, first 2 shown]
	v_fmac_f32_e32 v52, 0xbf737871, v46
	v_add_f32_e32 v51, v39, v43
	v_add_f32_e32 v6, v6, v41
	v_fmac_f32_e32 v47, 0x3f167918, v44
	v_add_f32_e32 v45, v45, v50
	v_fmac_f32_e32 v52, 0xbf167918, v44
	v_fmac_f32_e32 v13, -0.5, v51
	v_sub_f32_e32 v39, v40, v39
	v_sub_f32_e32 v40, v41, v43
	v_add_f32_e32 v41, v9, v34
	v_fmac_f32_e32 v60, 0x3e9e377a, v48
	v_fmac_f32_e32 v12, 0x3e9e377a, v48
	v_add_f32_e32 v48, v6, v43
	v_fmac_f32_e32 v47, 0x3e9e377a, v45
	v_fmac_f32_e32 v52, 0x3e9e377a, v45
	v_fmamk_f32 v45, v44, 0xbf737871, v13
	v_add_f32_e32 v6, v35, v36
	v_fmac_f32_e32 v13, 0x3f737871, v44
	v_sub_f32_e32 v37, v37, v38
	v_add_f32_e32 v38, v39, v40
	v_add_f32_e32 v39, v41, v35
	;; [unrolled: 1-line block ×3, first 2 shown]
	v_fma_f32 v6, -0.5, v6, v9
	v_fmac_f32_e32 v45, 0x3f167918, v46
	v_fmac_f32_e32 v13, 0xbf167918, v46
	v_sub_f32_e32 v31, v31, v32
	v_fmac_f32_e32 v9, -0.5, v41
	v_fmamk_f32 v40, v37, 0x3f737871, v6
	v_fmac_f32_e32 v45, 0x3e9e377a, v38
	v_fmac_f32_e32 v13, 0x3e9e377a, v38
	v_sub_f32_e32 v38, v34, v35
	v_fmac_f32_e32 v6, 0xbf737871, v37
	v_fmamk_f32 v41, v31, 0xbf737871, v9
	v_sub_f32_e32 v34, v35, v34
	v_sub_f32_e32 v35, v36, v33
	v_fmac_f32_e32 v9, 0x3f737871, v31
	v_add_f32_e32 v32, v39, v36
	v_sub_f32_e32 v39, v33, v36
	v_fmac_f32_e32 v40, 0x3f167918, v31
	v_fmac_f32_e32 v6, 0xbf167918, v31
	v_add_f32_e32 v31, v34, v35
	v_fmac_f32_e32 v9, 0xbf167918, v37
	v_add_f32_e32 v36, v38, v39
	;; [unrolled: 2-line block ×3, first 2 shown]
	s_waitcnt lgkmcnt(0)
	v_fmac_f32_e32 v9, 0x3e9e377a, v31
	v_fmac_f32_e32 v40, 0x3e9e377a, v36
	;; [unrolled: 1-line block ×4, first 2 shown]
	s_barrier
	buffer_gl0_inv
	ds_write2_b32 v29, v49, v54 offset1:51
	ds_write2_b32 v29, v60, v12 offset0:102 offset1:153
	ds_write_b32 v29, v55 offset:816
	ds_write2_b32 v30, v48, v47 offset1:51
	ds_write2_b32 v30, v45, v13 offset0:102 offset1:153
	ds_write_b32 v30, v52 offset:816
	;; [unrolled: 3-line block ×3, first 2 shown]
	v_add_nc_u32_e32 v9, 0x200, v58
	s_waitcnt lgkmcnt(0)
	s_barrier
	buffer_gl0_inv
	ds_read2_b32 v[28:29], v58 offset1:119
	ds_read2_b32 v[30:31], v9 offset0:127 offset1:246
	v_add_nc_u32_e32 v9, 0x600, v58
	v_add_nc_u32_e32 v12, 0xa00, v58
	;; [unrolled: 1-line block ×5, first 2 shown]
	ds_read2_b32 v[32:33], v9 offset0:126 offset1:245
	ds_read2_b32 v[34:35], v12 offset0:125 offset1:244
	ds_read2_b32 v[36:37], v13 offset0:124 offset1:243
	ds_read2_b32 v[38:39], v38 offset0:123 offset1:242
	ds_read2_b32 v[40:41], v40 offset0:122 offset1:241
                                        ; implicit-def: $vgpr12
                                        ; implicit-def: $vgpr43
	s_and_saveexec_b32 s1, s0
	s_cbranch_execz .LBB0_19
; %bb.18:
	v_add_nc_u32_e32 v6, 0x3b8, v58
	v_add_nc_u32_e32 v8, 0xbb0, v58
	;; [unrolled: 1-line block ×3, first 2 shown]
	ds_read2_b32 v[6:7], v6 offset1:255
	ds_read2_b32 v[8:9], v8 offset1:255
	;; [unrolled: 1-line block ×3, first 2 shown]
	ds_read_b32 v43, v58 offset:7072
.LBB0_19:
	s_or_b32 exec_lo, exec_lo, s1
	s_and_saveexec_b32 s1, vcc_lo
	s_cbranch_execz .LBB0_22
; %bb.20:
	v_mul_u32_u24_e32 v44, 6, v59
	v_mul_u32_u24_e32 v58, 6, v56
	v_mad_u64_u32 v[72:73], null, s2, v56, 0
	v_add_nc_u32_e32 v88, 0xff, v56
	v_lshlrev_b32_e32 v52, 3, v44
	v_lshlrev_b32_e32 v58, 3, v58
	v_add_nc_u32_e32 v89, 0x1fe, v56
	v_add_nc_u32_e32 v90, 0x2fd, v56
	;; [unrolled: 1-line block ×3, first 2 shown]
	s_clause 0x5
	global_load_dwordx4 v[44:47], v52, s[8:9] offset:1904
	global_load_dwordx4 v[48:51], v52, s[8:9] offset:1936
	;; [unrolled: 1-line block ×6, first 2 shown]
	v_add_nc_u32_e32 v92, 0x4fb, v56
	v_add_nc_u32_e32 v93, 0x5fa, v56
	v_mul_hi_u32 v86, 0x80808081, v59
	v_mad_u64_u32 v[74:75], null, s2, v88, 0
	v_mad_u64_u32 v[76:77], null, s2, v89, 0
	;; [unrolled: 1-line block ×5, first 2 shown]
	v_mov_b32_e32 v58, v73
	v_mad_u64_u32 v[84:85], null, s2, v93, 0
	v_lshrrev_b32_e32 v94, 7, v86
	v_mov_b32_e32 v73, v77
	v_mad_u64_u32 v[86:87], null, s3, v56, v[58:59]
	v_mov_b32_e32 v58, v75
	v_mov_b32_e32 v75, v79
	;; [unrolled: 1-line block ×5, first 2 shown]
	v_mad_u32_u24 v106, 0x5fa, v94, v59
	v_mad_u64_u32 v[58:59], null, s3, v88, v[58:59]
	v_mad_u64_u32 v[87:88], null, s3, v89, v[73:74]
	;; [unrolled: 1-line block ×7, first 2 shown]
	v_add_nc_u32_e32 v107, 0xff, v106
	v_add_nc_u32_e32 v108, 0x1fe, v106
	;; [unrolled: 1-line block ×3, first 2 shown]
	v_mov_b32_e32 v73, v86
	v_mov_b32_e32 v75, v58
	v_add_nc_u32_e32 v110, 0x3fc, v106
	v_add_nc_u32_e32 v112, 0x5fa, v106
	v_mad_u64_u32 v[94:95], null, s2, v107, 0
	v_add_nc_u32_e32 v111, 0x4fb, v106
	v_mad_u64_u32 v[96:97], null, s2, v108, 0
	v_mad_u64_u32 v[98:99], null, s2, v109, 0
	v_lshlrev_b64 v[72:73], 3, v[72:73]
	v_add_co_u32 v4, vcc_lo, s12, v4
	v_mov_b32_e32 v77, v87
	v_mov_b32_e32 v58, v93
	v_add_co_ci_u32_e32 v5, vcc_lo, s13, v5, vcc_lo
	v_lshlrev_b64 v[74:75], 3, v[74:75]
	v_mad_u64_u32 v[100:101], null, s2, v110, 0
	v_mad_u64_u32 v[104:105], null, s2, v112, 0
	v_mov_b32_e32 v79, v88
	v_mad_u64_u32 v[102:103], null, s2, v111, 0
	v_lshlrev_b64 v[76:77], 3, v[76:77]
	v_mad_u64_u32 v[58:59], null, s3, v106, v[58:59]
	v_add_co_u32 v72, vcc_lo, v4, v72
	v_mov_b32_e32 v81, v89
	v_mov_b32_e32 v59, v95
	;; [unrolled: 1-line block ×4, first 2 shown]
	v_add_co_ci_u32_e32 v73, vcc_lo, v5, v73, vcc_lo
	v_lshlrev_b64 v[78:79], 3, v[78:79]
	v_add_co_u32 v74, vcc_lo, v4, v74
	v_mov_b32_e32 v83, v90
	v_add_co_ci_u32_e32 v75, vcc_lo, v5, v75, vcc_lo
	v_lshlrev_b64 v[80:81], 3, v[80:81]
	v_mov_b32_e32 v88, v101
	v_mov_b32_e32 v90, v105
	v_add_co_u32 v76, vcc_lo, v4, v76
	v_mov_b32_e32 v85, v91
	v_mov_b32_e32 v89, v103
	v_add_co_ci_u32_e32 v77, vcc_lo, v5, v77, vcc_lo
	v_lshlrev_b64 v[82:83], 3, v[82:83]
	v_add_co_u32 v78, vcc_lo, v4, v78
	v_add_co_ci_u32_e32 v79, vcc_lo, v5, v79, vcc_lo
	v_lshlrev_b64 v[84:85], 3, v[84:85]
	v_add_co_u32 v80, vcc_lo, v4, v80
	v_add_co_ci_u32_e32 v81, vcc_lo, v5, v81, vcc_lo
	v_add_co_u32 v82, vcc_lo, v4, v82
	v_mov_b32_e32 v93, v58
	v_add_co_ci_u32_e32 v83, vcc_lo, v5, v83, vcc_lo
	v_add_co_u32 v58, vcc_lo, v4, v84
	s_waitcnt vmcnt(2)
	v_mad_u64_u32 v[105:106], null, s3, v107, v[59:60]
	v_mad_u64_u32 v[106:107], null, s3, v108, v[86:87]
	;; [unrolled: 1-line block ×4, first 2 shown]
	v_mov_b32_e32 v95, v105
	v_mad_u64_u32 v[88:89], null, s3, v111, v[89:90]
	v_mov_b32_e32 v97, v106
	v_add_co_ci_u32_e32 v59, vcc_lo, v5, v85, vcc_lo
	v_lshlrev_b64 v[84:85], 3, v[92:93]
	v_mov_b32_e32 v99, v86
	v_mov_b32_e32 v101, v87
	v_lshlrev_b64 v[86:87], 3, v[94:95]
	v_lshlrev_b64 v[91:92], 3, v[96:97]
	v_mul_f32_e32 v89, v19, v44
	v_mul_f32_e32 v93, v27, v50
	;; [unrolled: 1-line block ×13, first 2 shown]
	s_waitcnt vmcnt(1)
	v_mul_f32_e32 v105, v26, v66
	v_mul_f32_e32 v108, v16, v62
	;; [unrolled: 1-line block ×7, first 2 shown]
	s_waitcnt vmcnt(0)
	v_mul_f32_e32 v106, v22, v70
	v_mul_f32_e32 v107, v20, v68
	;; [unrolled: 1-line block ×4, first 2 shown]
	s_waitcnt lgkmcnt(5)
	v_fmac_f32_e32 v89, v31, v45
	s_waitcnt lgkmcnt(0)
	v_fmac_f32_e32 v93, v41, v51
	v_fmac_f32_e32 v94, v37, v55
	;; [unrolled: 1-line block ×5, first 2 shown]
	v_fma_f32 v27, v41, v50, -v27
	v_fma_f32 v19, v31, v44, -v19
	;; [unrolled: 1-line block ×6, first 2 shown]
	v_fmac_f32_e32 v103, v30, v61
	v_fmac_f32_e32 v105, v40, v67
	;; [unrolled: 1-line block ×4, first 2 shown]
	v_fma_f32 v26, v40, v66, -v26
	v_fma_f32 v18, v30, v60, -v18
	;; [unrolled: 1-line block ×4, first 2 shown]
	v_fmac_f32_e32 v106, v36, v71
	v_fmac_f32_e32 v107, v34, v69
	v_fma_f32 v20, v34, v68, -v20
	v_fma_f32 v22, v36, v70, -v22
	v_sub_f32_e32 v30, v89, v93
	v_sub_f32_e32 v31, v94, v95
	;; [unrolled: 1-line block ×3, first 2 shown]
	v_add_f32_e32 v33, v19, v27
	v_add_f32_e32 v34, v23, v21
	;; [unrolled: 1-line block ×6, first 2 shown]
	v_sub_f32_e32 v19, v19, v27
	v_sub_f32_e32 v21, v23, v21
	;; [unrolled: 1-line block ×3, first 2 shown]
	v_add_f32_e32 v39, v18, v26
	v_add_f32_e32 v41, v16, v24
	;; [unrolled: 1-line block ×4, first 2 shown]
	v_sub_f32_e32 v23, v103, v105
	v_sub_f32_e32 v25, v106, v107
	;; [unrolled: 1-line block ×3, first 2 shown]
	v_add_f32_e32 v40, v22, v20
	v_add_f32_e32 v45, v106, v107
	v_sub_f32_e32 v18, v18, v26
	v_sub_f32_e32 v20, v22, v20
	;; [unrolled: 1-line block ×5, first 2 shown]
	v_add_f32_e32 v26, v31, v32
	v_sub_f32_e32 v31, v33, v34
	v_add_f32_e32 v48, v33, v35
	v_sub_f32_e32 v50, v37, v38
	v_add_f32_e32 v51, v36, v38
	v_sub_f32_e32 v52, v19, v21
	v_sub_f32_e32 v53, v21, v17
	v_add_f32_e32 v21, v21, v17
	v_sub_f32_e32 v32, v32, v30
	v_sub_f32_e32 v17, v17, v19
	v_add_f32_e32 v60, v39, v41
	v_add_f32_e32 v63, v44, v46
	v_sub_f32_e32 v47, v34, v35
	v_sub_f32_e32 v49, v36, v37
	;; [unrolled: 1-line block ×6, first 2 shown]
	v_add_f32_e32 v25, v25, v27
	v_sub_f32_e32 v54, v39, v40
	v_sub_f32_e32 v55, v40, v41
	;; [unrolled: 1-line block ×6, first 2 shown]
	v_add_f32_e32 v20, v20, v16
	v_sub_f32_e32 v27, v27, v23
	v_mul_f32_e32 v24, 0x3f08b237, v24
	v_add_f32_e32 v26, v30, v26
	v_mul_f32_e32 v30, 0x3f4a47b2, v31
	v_add_f32_e32 v34, v34, v48
	;; [unrolled: 2-line block ×4, first 2 shown]
	v_mul_f32_e32 v21, 0xbf5ff5aa, v32
	v_mul_f32_e32 v51, 0xbf5ff5aa, v17
	v_add_f32_e32 v40, v40, v60
	v_add_f32_e32 v45, v45, v63
	v_sub_f32_e32 v39, v41, v39
	v_sub_f32_e32 v41, v46, v44
	;; [unrolled: 1-line block ×3, first 2 shown]
	v_mul_f32_e32 v46, 0x3d64c772, v47
	v_mul_f32_e32 v47, 0x3f4a47b2, v49
	;; [unrolled: 1-line block ×6, first 2 shown]
	v_add_f32_e32 v20, v18, v20
	v_mul_f32_e32 v63, 0xbf5ff5aa, v27
	v_fmamk_f32 v66, v22, 0xbeae86e6, v24
	v_add_f32_e32 v16, v29, v34
	v_fmamk_f32 v29, v49, 0x3f4a47b2, v48
	v_add_f32_e32 v15, v15, v37
	v_fmamk_f32 v49, v52, 0xbeae86e6, v50
	v_fma_f32 v67, 0x3eae86e6, v22, -v21
	v_fma_f32 v21, 0xbf3bfb3b, v33, -v30
	;; [unrolled: 1-line block ×5, first 2 shown]
	v_add_f32_e32 v18, v28, v40
	v_add_f32_e32 v17, v14, v45
	;; [unrolled: 1-line block ×3, first 2 shown]
	v_mul_f32_e32 v25, 0x3f4a47b2, v54
	v_mul_f32_e32 v55, 0x3f4a47b2, v61
	;; [unrolled: 1-line block ×3, first 2 shown]
	v_fmamk_f32 v31, v31, 0x3f4a47b2, v46
	v_fma_f32 v22, 0xbf3bfb3b, v35, -v47
	v_fma_f32 v33, 0x3f3bfb3b, v33, -v46
	;; [unrolled: 1-line block ×3, first 2 shown]
	v_fmamk_f32 v46, v36, 0xbeae86e6, v38
	v_fmamk_f32 v47, v54, 0x3f4a47b2, v53
	;; [unrolled: 1-line block ×4, first 2 shown]
	v_fma_f32 v48, 0x3eae86e6, v36, -v63
	v_fma_f32 v38, 0xbf5ff5aa, v27, -v38
	v_fmac_f32_e32 v66, 0xbee1c552, v26
	v_fmamk_f32 v34, v34, 0xbf955555, v16
	v_fmamk_f32 v37, v37, 0xbf955555, v15
	v_fmac_f32_e32 v49, 0xbee1c552, v19
	v_fmac_f32_e32 v67, 0xbee1c552, v26
	;; [unrolled: 1-line block ×5, first 2 shown]
	v_fmamk_f32 v19, v40, 0xbf955555, v18
	v_fmamk_f32 v26, v45, 0xbf955555, v17
	v_fma_f32 v25, 0xbf3bfb3b, v39, -v25
	v_fma_f32 v36, 0xbf3bfb3b, v41, -v55
	;; [unrolled: 1-line block ×6, first 2 shown]
	v_add_co_u32 v84, vcc_lo, v4, v84
	v_fmac_f32_e32 v46, 0xbee1c552, v23
	v_fmac_f32_e32 v14, 0xbee1c552, v20
	;; [unrolled: 1-line block ×4, first 2 shown]
	v_add_f32_e32 v29, v29, v37
	v_add_f32_e32 v40, v21, v34
	;; [unrolled: 1-line block ×7, first 2 shown]
	v_add_co_ci_u32_e32 v85, vcc_lo, v5, v85, vcc_lo
	v_fmac_f32_e32 v50, 0xbee1c552, v20
	v_add_f32_e32 v45, v25, v19
	v_add_f32_e32 v47, v36, v26
	v_add_f32_e32 v36, v39, v19
	v_add_co_u32 v86, vcc_lo, v4, v86
	v_fmac_f32_e32 v44, 0xbee1c552, v20
	v_add_f32_e32 v51, v27, v26
	v_add_co_ci_u32_e32 v87, vcc_lo, v5, v87, vcc_lo
	v_add_f32_e32 v31, v31, v34
	v_add_co_u32 v91, vcc_lo, v4, v91
	v_add_f32_e32 v20, v67, v40
	v_sub_f32_e32 v26, v40, v67
	v_sub_f32_e32 v40, v35, v46
	v_add_f32_e32 v39, v14, v37
	global_store_dwordx2 v[72:73], v[17:18], off
	v_sub_f32_e32 v17, v29, v49
	v_add_f32_e32 v27, v49, v29
	v_sub_f32_e32 v29, v37, v14
	v_sub_f32_e32 v34, v36, v38
	v_add_f32_e32 v36, v38, v36
	v_sub_f32_e32 v38, v45, v48
	v_add_f32_e32 v37, v50, v47
	;; [unrolled: 2-line block ×3, first 2 shown]
	v_add_f32_e32 v30, v46, v35
	v_sub_f32_e32 v35, v51, v44
	v_sub_f32_e32 v22, v23, v24
	v_add_f32_e32 v21, v32, v33
	v_add_f32_e32 v24, v24, v23
	v_sub_f32_e32 v23, v33, v32
	v_add_f32_e32 v33, v44, v51
	v_add_f32_e32 v18, v66, v31
	v_sub_f32_e32 v28, v31, v66
	v_add_f32_e32 v32, v48, v45
	v_sub_f32_e32 v31, v47, v50
	global_store_dwordx2 v[74:75], v[39:40], off
	global_store_dwordx2 v[76:77], v[37:38], off
	;; [unrolled: 1-line block ×8, first 2 shown]
	v_mad_u64_u32 v[27:28], null, s3, v112, v[90:91]
	v_lshlrev_b64 v[14:15], 3, v[98:99]
	v_mov_b32_e32 v103, v88
	v_lshlrev_b64 v[28:29], 3, v[100:101]
	v_add_co_ci_u32_e32 v92, vcc_lo, v5, v92, vcc_lo
	v_mov_b32_e32 v105, v27
	v_add_co_u32 v14, vcc_lo, v4, v14
	v_lshlrev_b64 v[30:31], 3, v[102:103]
	v_add_co_ci_u32_e32 v15, vcc_lo, v5, v15, vcc_lo
	v_add_co_u32 v27, vcc_lo, v4, v28
	v_lshlrev_b64 v[32:33], 3, v[104:105]
	v_add_co_ci_u32_e32 v28, vcc_lo, v5, v29, vcc_lo
	v_add_co_u32 v29, vcc_lo, v4, v30
	v_add_co_ci_u32_e32 v30, vcc_lo, v5, v31, vcc_lo
	v_add_co_u32 v31, vcc_lo, v4, v32
	v_add_co_ci_u32_e32 v32, vcc_lo, v5, v33, vcc_lo
	global_store_dwordx2 v[91:92], v[25:26], off
	global_store_dwordx2 v[14:15], v[23:24], off
	;; [unrolled: 1-line block ×5, first 2 shown]
	s_and_b32 exec_lo, exec_lo, s0
	s_cbranch_execz .LBB0_22
; %bb.21:
	v_subrev_nc_u32_e32 v14, 17, v56
	v_mov_b32_e32 v15, 0
	v_add_nc_u32_e32 v44, 0x1ed, v56
	v_add_nc_u32_e32 v46, 0x2ec, v56
	v_mad_u64_u32 v[26:27], null, s2, v57, 0
	v_cndmask_b32_e64 v14, v14, v57, s0
	v_mad_u64_u32 v[28:29], null, s2, v44, 0
	v_add_nc_u32_e32 v47, 0x3eb, v56
	v_mad_u64_u32 v[30:31], null, s2, v46, 0
	v_mul_i32_i24_e32 v14, 6, v14
	v_add_nc_u32_e32 v48, 0x4ea, v56
	v_mad_u64_u32 v[32:33], null, s2, v47, 0
	v_add_nc_u32_e32 v49, 0x5e9, v56
	v_lshlrev_b64 v[14:15], 3, v[14:15]
	v_mad_u64_u32 v[40:41], null, s3, v57, v[27:28]
	v_mov_b32_e32 v27, v29
	v_mad_u64_u32 v[34:35], null, s2, v48, 0
	v_add_co_u32 v22, vcc_lo, s8, v14
	v_add_co_ci_u32_e32 v23, vcc_lo, s9, v15, vcc_lo
	v_add_nc_u32_e32 v50, 0x6e8, v56
	s_clause 0x2
	global_load_dwordx4 v[14:17], v[22:23], off offset:1904
	global_load_dwordx4 v[18:21], v[22:23], off offset:1920
	;; [unrolled: 1-line block ×3, first 2 shown]
	v_mov_b32_e32 v29, v31
	v_mad_u64_u32 v[36:37], null, s2, v49, 0
	v_mad_u64_u32 v[44:45], null, s3, v44, v[27:28]
	v_mov_b32_e32 v31, v33
	v_mad_u64_u32 v[38:39], null, s2, v50, 0
	v_mad_u64_u32 v[45:46], null, s3, v46, v[29:30]
	v_mov_b32_e32 v33, v35
	v_mov_b32_e32 v27, v40
	v_mad_u64_u32 v[46:47], null, s3, v47, v[31:32]
	v_mov_b32_e32 v35, v37
	v_mov_b32_e32 v29, v44
	v_mad_u64_u32 v[47:48], null, s3, v48, v[33:34]
	v_mov_b32_e32 v37, v39
	v_lshlrev_b64 v[26:27], 3, v[26:27]
	v_mov_b32_e32 v31, v45
	v_mad_u64_u32 v[39:40], null, s3, v49, v[35:36]
	v_lshlrev_b64 v[28:29], 3, v[28:29]
	v_mov_b32_e32 v33, v46
	v_mad_u64_u32 v[40:41], null, s3, v50, v[37:38]
	v_lshlrev_b64 v[30:31], 3, v[30:31]
	v_add_co_u32 v26, vcc_lo, v4, v26
	v_mov_b32_e32 v35, v47
	v_add_co_ci_u32_e32 v27, vcc_lo, v5, v27, vcc_lo
	v_lshlrev_b64 v[32:33], 3, v[32:33]
	v_add_co_u32 v28, vcc_lo, v4, v28
	v_mov_b32_e32 v37, v39
	v_add_co_ci_u32_e32 v29, vcc_lo, v5, v29, vcc_lo
	v_lshlrev_b64 v[34:35], 3, v[34:35]
	v_add_co_u32 v30, vcc_lo, v4, v30
	v_mov_b32_e32 v39, v40
	v_add_co_ci_u32_e32 v31, vcc_lo, v5, v31, vcc_lo
	v_lshlrev_b64 v[36:37], 3, v[36:37]
	v_add_co_u32 v32, vcc_lo, v4, v32
	v_add_co_ci_u32_e32 v33, vcc_lo, v5, v33, vcc_lo
	v_lshlrev_b64 v[38:39], 3, v[38:39]
	v_add_co_u32 v34, vcc_lo, v4, v34
	v_add_co_ci_u32_e32 v35, vcc_lo, v5, v35, vcc_lo
	v_add_co_u32 v36, vcc_lo, v4, v36
	v_add_co_ci_u32_e32 v37, vcc_lo, v5, v37, vcc_lo
	;; [unrolled: 2-line block ×3, first 2 shown]
	s_waitcnt vmcnt(2)
	v_mul_f32_e32 v38, v7, v15
	v_mul_f32_e32 v15, v1, v15
	;; [unrolled: 1-line block ×4, first 2 shown]
	s_waitcnt vmcnt(1)
	v_mul_f32_e32 v40, v9, v19
	v_mul_f32_e32 v19, v3, v19
	s_waitcnt vmcnt(0)
	v_mul_f32_e32 v44, v13, v23
	v_mul_f32_e32 v23, v11, v23
	;; [unrolled: 1-line block ×6, first 2 shown]
	v_fmac_f32_e32 v38, v1, v14
	v_fma_f32 v1, v7, v14, -v15
	v_fmac_f32_e32 v39, v2, v16
	v_fma_f32 v2, v8, v16, -v17
	;; [unrolled: 2-line block ×6, first 2 shown]
	v_add_f32_e32 v10, v38, v45
	v_add_f32_e32 v11, v1, v7
	v_sub_f32_e32 v1, v1, v7
	v_add_f32_e32 v7, v39, v44
	v_add_f32_e32 v13, v2, v9
	v_sub_f32_e32 v12, v38, v45
	v_sub_f32_e32 v14, v39, v44
	;; [unrolled: 1-line block ×3, first 2 shown]
	v_add_f32_e32 v9, v40, v41
	v_add_f32_e32 v15, v3, v8
	v_sub_f32_e32 v16, v41, v40
	v_sub_f32_e32 v3, v8, v3
	v_add_f32_e32 v8, v7, v10
	v_add_f32_e32 v17, v13, v11
	v_sub_f32_e32 v18, v7, v10
	v_sub_f32_e32 v19, v13, v11
	;; [unrolled: 1-line block ×6, first 2 shown]
	v_add_f32_e32 v20, v16, v14
	v_add_f32_e32 v21, v3, v2
	v_sub_f32_e32 v22, v16, v14
	v_sub_f32_e32 v23, v3, v2
	;; [unrolled: 1-line block ×4, first 2 shown]
	v_add_f32_e32 v8, v9, v8
	v_add_f32_e32 v9, v15, v17
	v_sub_f32_e32 v16, v12, v16
	v_sub_f32_e32 v3, v1, v3
	v_add_f32_e32 v12, v20, v12
	v_add_f32_e32 v15, v21, v1
	v_mul_f32_e32 v10, 0x3f4a47b2, v10
	v_mul_f32_e32 v11, 0x3f4a47b2, v11
	;; [unrolled: 1-line block ×8, first 2 shown]
	v_add_f32_e32 v0, v0, v8
	v_add_f32_e32 v1, v6, v9
	v_fmamk_f32 v6, v7, 0x3d64c772, v10
	v_fmamk_f32 v7, v13, 0x3d64c772, v11
	v_fma_f32 v13, 0x3f3bfb3b, v18, -v17
	v_fma_f32 v17, 0x3f3bfb3b, v19, -v20
	v_fma_f32 v10, 0xbf3bfb3b, v18, -v10
	v_fma_f32 v11, 0xbf3bfb3b, v19, -v11
	v_fmamk_f32 v18, v16, 0xbeae86e6, v21
	v_fmamk_f32 v19, v3, 0xbeae86e6, v22
	v_fma_f32 v14, 0xbf5ff5aa, v14, -v21
	v_fma_f32 v20, 0xbf5ff5aa, v2, -v22
	;; [unrolled: 1-line block ×4, first 2 shown]
	v_fmamk_f32 v2, v8, 0xbf955555, v0
	v_fmamk_f32 v3, v9, 0xbf955555, v1
	v_fmac_f32_e32 v18, 0xbee1c552, v12
	v_fmac_f32_e32 v19, 0xbee1c552, v15
	;; [unrolled: 1-line block ×6, first 2 shown]
	v_add_f32_e32 v12, v6, v2
	v_add_f32_e32 v15, v7, v3
	;; [unrolled: 1-line block ×6, first 2 shown]
	global_store_dwordx2 v[26:27], v[0:1], off
	v_add_f32_e32 v0, v19, v12
	v_sub_f32_e32 v1, v15, v18
	v_add_f32_e32 v2, v21, v10
	v_sub_f32_e32 v3, v11, v16
	v_sub_f32_e32 v6, v8, v20
	v_add_f32_e32 v7, v14, v9
	v_add_f32_e32 v8, v20, v8
	v_sub_f32_e32 v9, v9, v14
	v_sub_f32_e32 v10, v10, v21
	v_add_f32_e32 v11, v16, v11
	v_sub_f32_e32 v12, v12, v19
	v_add_f32_e32 v13, v18, v15
	global_store_dwordx2 v[28:29], v[0:1], off
	global_store_dwordx2 v[30:31], v[2:3], off
	;; [unrolled: 1-line block ×6, first 2 shown]
.LBB0_22:
	s_endpgm
	.section	.rodata,"a",@progbits
	.p2align	6, 0x0
	.amdhsa_kernel fft_rtc_back_len1785_factors_17_3_5_7_wgs_119_tpt_119_halfLds_sp_ip_CI_sbrr_dirReg
		.amdhsa_group_segment_fixed_size 0
		.amdhsa_private_segment_fixed_size 0
		.amdhsa_kernarg_size 88
		.amdhsa_user_sgpr_count 6
		.amdhsa_user_sgpr_private_segment_buffer 1
		.amdhsa_user_sgpr_dispatch_ptr 0
		.amdhsa_user_sgpr_queue_ptr 0
		.amdhsa_user_sgpr_kernarg_segment_ptr 1
		.amdhsa_user_sgpr_dispatch_id 0
		.amdhsa_user_sgpr_flat_scratch_init 0
		.amdhsa_user_sgpr_private_segment_size 0
		.amdhsa_wavefront_size32 1
		.amdhsa_uses_dynamic_stack 0
		.amdhsa_system_sgpr_private_segment_wavefront_offset 0
		.amdhsa_system_sgpr_workgroup_id_x 1
		.amdhsa_system_sgpr_workgroup_id_y 0
		.amdhsa_system_sgpr_workgroup_id_z 0
		.amdhsa_system_sgpr_workgroup_info 0
		.amdhsa_system_vgpr_workitem_id 0
		.amdhsa_next_free_vgpr 113
		.amdhsa_next_free_sgpr 23
		.amdhsa_reserve_vcc 1
		.amdhsa_reserve_flat_scratch 0
		.amdhsa_float_round_mode_32 0
		.amdhsa_float_round_mode_16_64 0
		.amdhsa_float_denorm_mode_32 3
		.amdhsa_float_denorm_mode_16_64 3
		.amdhsa_dx10_clamp 1
		.amdhsa_ieee_mode 1
		.amdhsa_fp16_overflow 0
		.amdhsa_workgroup_processor_mode 1
		.amdhsa_memory_ordered 1
		.amdhsa_forward_progress 0
		.amdhsa_shared_vgpr_count 0
		.amdhsa_exception_fp_ieee_invalid_op 0
		.amdhsa_exception_fp_denorm_src 0
		.amdhsa_exception_fp_ieee_div_zero 0
		.amdhsa_exception_fp_ieee_overflow 0
		.amdhsa_exception_fp_ieee_underflow 0
		.amdhsa_exception_fp_ieee_inexact 0
		.amdhsa_exception_int_div_zero 0
	.end_amdhsa_kernel
	.text
.Lfunc_end0:
	.size	fft_rtc_back_len1785_factors_17_3_5_7_wgs_119_tpt_119_halfLds_sp_ip_CI_sbrr_dirReg, .Lfunc_end0-fft_rtc_back_len1785_factors_17_3_5_7_wgs_119_tpt_119_halfLds_sp_ip_CI_sbrr_dirReg
                                        ; -- End function
	.section	.AMDGPU.csdata,"",@progbits
; Kernel info:
; codeLenInByte = 14036
; NumSgprs: 25
; NumVgprs: 113
; ScratchSize: 0
; MemoryBound: 0
; FloatMode: 240
; IeeeMode: 1
; LDSByteSize: 0 bytes/workgroup (compile time only)
; SGPRBlocks: 3
; VGPRBlocks: 14
; NumSGPRsForWavesPerEU: 25
; NumVGPRsForWavesPerEU: 113
; Occupancy: 8
; WaveLimiterHint : 1
; COMPUTE_PGM_RSRC2:SCRATCH_EN: 0
; COMPUTE_PGM_RSRC2:USER_SGPR: 6
; COMPUTE_PGM_RSRC2:TRAP_HANDLER: 0
; COMPUTE_PGM_RSRC2:TGID_X_EN: 1
; COMPUTE_PGM_RSRC2:TGID_Y_EN: 0
; COMPUTE_PGM_RSRC2:TGID_Z_EN: 0
; COMPUTE_PGM_RSRC2:TIDIG_COMP_CNT: 0
	.text
	.p2alignl 6, 3214868480
	.fill 48, 4, 3214868480
	.type	__hip_cuid_8119e364442afb35,@object ; @__hip_cuid_8119e364442afb35
	.section	.bss,"aw",@nobits
	.globl	__hip_cuid_8119e364442afb35
__hip_cuid_8119e364442afb35:
	.byte	0                               ; 0x0
	.size	__hip_cuid_8119e364442afb35, 1

	.ident	"AMD clang version 19.0.0git (https://github.com/RadeonOpenCompute/llvm-project roc-6.4.0 25133 c7fe45cf4b819c5991fe208aaa96edf142730f1d)"
	.section	".note.GNU-stack","",@progbits
	.addrsig
	.addrsig_sym __hip_cuid_8119e364442afb35
	.amdgpu_metadata
---
amdhsa.kernels:
  - .args:
      - .actual_access:  read_only
        .address_space:  global
        .offset:         0
        .size:           8
        .value_kind:     global_buffer
      - .offset:         8
        .size:           8
        .value_kind:     by_value
      - .actual_access:  read_only
        .address_space:  global
        .offset:         16
        .size:           8
        .value_kind:     global_buffer
      - .actual_access:  read_only
        .address_space:  global
        .offset:         24
        .size:           8
        .value_kind:     global_buffer
      - .offset:         32
        .size:           8
        .value_kind:     by_value
      - .actual_access:  read_only
        .address_space:  global
        .offset:         40
        .size:           8
        .value_kind:     global_buffer
      - .actual_access:  read_only
        .address_space:  global
        .offset:         48
        .size:           8
        .value_kind:     global_buffer
      - .offset:         56
        .size:           4
        .value_kind:     by_value
      - .actual_access:  read_only
        .address_space:  global
        .offset:         64
        .size:           8
        .value_kind:     global_buffer
      - .actual_access:  read_only
        .address_space:  global
        .offset:         72
        .size:           8
        .value_kind:     global_buffer
      - .address_space:  global
        .offset:         80
        .size:           8
        .value_kind:     global_buffer
    .group_segment_fixed_size: 0
    .kernarg_segment_align: 8
    .kernarg_segment_size: 88
    .language:       OpenCL C
    .language_version:
      - 2
      - 0
    .max_flat_workgroup_size: 119
    .name:           fft_rtc_back_len1785_factors_17_3_5_7_wgs_119_tpt_119_halfLds_sp_ip_CI_sbrr_dirReg
    .private_segment_fixed_size: 0
    .sgpr_count:     25
    .sgpr_spill_count: 0
    .symbol:         fft_rtc_back_len1785_factors_17_3_5_7_wgs_119_tpt_119_halfLds_sp_ip_CI_sbrr_dirReg.kd
    .uniform_work_group_size: 1
    .uses_dynamic_stack: false
    .vgpr_count:     113
    .vgpr_spill_count: 0
    .wavefront_size: 32
    .workgroup_processor_mode: 1
amdhsa.target:   amdgcn-amd-amdhsa--gfx1030
amdhsa.version:
  - 1
  - 2
...

	.end_amdgpu_metadata
